;; amdgpu-corpus repo=ROCm/rocFFT kind=compiled arch=gfx906 opt=O3
	.text
	.amdgcn_target "amdgcn-amd-amdhsa--gfx906"
	.amdhsa_code_object_version 6
	.protected	fft_rtc_fwd_len1920_factors_10_6_16_2_wgs_240_tpt_120_halfLds_sp_ip_CI_sbrr_dirReg ; -- Begin function fft_rtc_fwd_len1920_factors_10_6_16_2_wgs_240_tpt_120_halfLds_sp_ip_CI_sbrr_dirReg
	.globl	fft_rtc_fwd_len1920_factors_10_6_16_2_wgs_240_tpt_120_halfLds_sp_ip_CI_sbrr_dirReg
	.p2align	8
	.type	fft_rtc_fwd_len1920_factors_10_6_16_2_wgs_240_tpt_120_halfLds_sp_ip_CI_sbrr_dirReg,@function
fft_rtc_fwd_len1920_factors_10_6_16_2_wgs_240_tpt_120_halfLds_sp_ip_CI_sbrr_dirReg: ; @fft_rtc_fwd_len1920_factors_10_6_16_2_wgs_240_tpt_120_halfLds_sp_ip_CI_sbrr_dirReg
; %bb.0:
	s_load_dwordx2 s[2:3], s[4:5], 0x18
	s_load_dwordx4 s[8:11], s[4:5], 0x0
	s_load_dwordx2 s[14:15], s[4:5], 0x50
	v_mul_u32_u24_e32 v1, 0x223, v0
	v_lshrrev_b32_e32 v44, 16, v1
	s_waitcnt lgkmcnt(0)
	s_load_dwordx2 s[12:13], s[2:3], 0x0
	v_cmp_lt_u64_e64 s[0:1], s[10:11], 2
	v_mov_b32_e32 v3, 0
	v_mov_b32_e32 v1, 0
	v_lshl_add_u32 v5, s6, 1, v44
	v_mov_b32_e32 v6, v3
	s_and_b64 vcc, exec, s[0:1]
	v_mov_b32_e32 v2, 0
	s_cbranch_vccnz .LBB0_8
; %bb.1:
	s_load_dwordx2 s[0:1], s[4:5], 0x10
	s_add_u32 s6, s2, 8
	s_addc_u32 s7, s3, 0
	v_mov_b32_e32 v1, 0
	v_mov_b32_e32 v2, 0
	s_waitcnt lgkmcnt(0)
	s_add_u32 s16, s0, 8
	s_addc_u32 s17, s1, 0
	s_mov_b64 s[18:19], 1
.LBB0_2:                                ; =>This Inner Loop Header: Depth=1
	s_load_dwordx2 s[20:21], s[16:17], 0x0
                                        ; implicit-def: $vgpr7_vgpr8
	s_waitcnt lgkmcnt(0)
	v_or_b32_e32 v4, s21, v6
	v_cmp_ne_u64_e32 vcc, 0, v[3:4]
	s_and_saveexec_b64 s[0:1], vcc
	s_xor_b64 s[22:23], exec, s[0:1]
	s_cbranch_execz .LBB0_4
; %bb.3:                                ;   in Loop: Header=BB0_2 Depth=1
	v_cvt_f32_u32_e32 v4, s20
	v_cvt_f32_u32_e32 v7, s21
	s_sub_u32 s0, 0, s20
	s_subb_u32 s1, 0, s21
	v_mac_f32_e32 v4, 0x4f800000, v7
	v_rcp_f32_e32 v4, v4
	v_mul_f32_e32 v4, 0x5f7ffffc, v4
	v_mul_f32_e32 v7, 0x2f800000, v4
	v_trunc_f32_e32 v7, v7
	v_mac_f32_e32 v4, 0xcf800000, v7
	v_cvt_u32_f32_e32 v7, v7
	v_cvt_u32_f32_e32 v4, v4
	v_mul_lo_u32 v8, s0, v7
	v_mul_hi_u32 v9, s0, v4
	v_mul_lo_u32 v11, s1, v4
	v_mul_lo_u32 v10, s0, v4
	v_add_u32_e32 v8, v9, v8
	v_add_u32_e32 v8, v8, v11
	v_mul_hi_u32 v9, v4, v10
	v_mul_lo_u32 v11, v4, v8
	v_mul_hi_u32 v13, v4, v8
	v_mul_hi_u32 v12, v7, v10
	v_mul_lo_u32 v10, v7, v10
	v_mul_hi_u32 v14, v7, v8
	v_add_co_u32_e32 v9, vcc, v9, v11
	v_addc_co_u32_e32 v11, vcc, 0, v13, vcc
	v_mul_lo_u32 v8, v7, v8
	v_add_co_u32_e32 v9, vcc, v9, v10
	v_addc_co_u32_e32 v9, vcc, v11, v12, vcc
	v_addc_co_u32_e32 v10, vcc, 0, v14, vcc
	v_add_co_u32_e32 v8, vcc, v9, v8
	v_addc_co_u32_e32 v9, vcc, 0, v10, vcc
	v_add_co_u32_e32 v4, vcc, v4, v8
	v_addc_co_u32_e32 v7, vcc, v7, v9, vcc
	v_mul_lo_u32 v8, s0, v7
	v_mul_hi_u32 v9, s0, v4
	v_mul_lo_u32 v10, s1, v4
	v_mul_lo_u32 v11, s0, v4
	v_add_u32_e32 v8, v9, v8
	v_add_u32_e32 v8, v8, v10
	v_mul_lo_u32 v12, v4, v8
	v_mul_hi_u32 v13, v4, v11
	v_mul_hi_u32 v14, v4, v8
	v_mul_hi_u32 v10, v7, v11
	v_mul_lo_u32 v11, v7, v11
	v_mul_hi_u32 v9, v7, v8
	v_add_co_u32_e32 v12, vcc, v13, v12
	v_addc_co_u32_e32 v13, vcc, 0, v14, vcc
	v_mul_lo_u32 v8, v7, v8
	v_add_co_u32_e32 v11, vcc, v12, v11
	v_addc_co_u32_e32 v10, vcc, v13, v10, vcc
	v_addc_co_u32_e32 v9, vcc, 0, v9, vcc
	v_add_co_u32_e32 v8, vcc, v10, v8
	v_addc_co_u32_e32 v9, vcc, 0, v9, vcc
	v_add_co_u32_e32 v4, vcc, v4, v8
	v_addc_co_u32_e32 v9, vcc, v7, v9, vcc
	v_mad_u64_u32 v[7:8], s[0:1], v5, v9, 0
	v_mul_hi_u32 v10, v5, v4
	v_add_co_u32_e32 v11, vcc, v10, v7
	v_addc_co_u32_e32 v12, vcc, 0, v8, vcc
	v_mad_u64_u32 v[7:8], s[0:1], v6, v4, 0
	v_mad_u64_u32 v[9:10], s[0:1], v6, v9, 0
	v_add_co_u32_e32 v4, vcc, v11, v7
	v_addc_co_u32_e32 v4, vcc, v12, v8, vcc
	v_addc_co_u32_e32 v7, vcc, 0, v10, vcc
	v_add_co_u32_e32 v4, vcc, v4, v9
	v_addc_co_u32_e32 v9, vcc, 0, v7, vcc
	v_mul_lo_u32 v10, s21, v4
	v_mul_lo_u32 v11, s20, v9
	v_mad_u64_u32 v[7:8], s[0:1], s20, v4, 0
	v_add3_u32 v8, v8, v11, v10
	v_sub_u32_e32 v10, v6, v8
	v_mov_b32_e32 v11, s21
	v_sub_co_u32_e32 v7, vcc, v5, v7
	v_subb_co_u32_e64 v10, s[0:1], v10, v11, vcc
	v_subrev_co_u32_e64 v11, s[0:1], s20, v7
	v_subbrev_co_u32_e64 v10, s[0:1], 0, v10, s[0:1]
	v_cmp_le_u32_e64 s[0:1], s21, v10
	v_cndmask_b32_e64 v12, 0, -1, s[0:1]
	v_cmp_le_u32_e64 s[0:1], s20, v11
	v_cndmask_b32_e64 v11, 0, -1, s[0:1]
	v_cmp_eq_u32_e64 s[0:1], s21, v10
	v_cndmask_b32_e64 v10, v12, v11, s[0:1]
	v_add_co_u32_e64 v11, s[0:1], 2, v4
	v_addc_co_u32_e64 v12, s[0:1], 0, v9, s[0:1]
	v_add_co_u32_e64 v13, s[0:1], 1, v4
	v_addc_co_u32_e64 v14, s[0:1], 0, v9, s[0:1]
	v_subb_co_u32_e32 v8, vcc, v6, v8, vcc
	v_cmp_ne_u32_e64 s[0:1], 0, v10
	v_cmp_le_u32_e32 vcc, s21, v8
	v_cndmask_b32_e64 v10, v14, v12, s[0:1]
	v_cndmask_b32_e64 v12, 0, -1, vcc
	v_cmp_le_u32_e32 vcc, s20, v7
	v_cndmask_b32_e64 v7, 0, -1, vcc
	v_cmp_eq_u32_e32 vcc, s21, v8
	v_cndmask_b32_e32 v7, v12, v7, vcc
	v_cmp_ne_u32_e32 vcc, 0, v7
	v_cndmask_b32_e64 v7, v13, v11, s[0:1]
	v_cndmask_b32_e32 v8, v9, v10, vcc
	v_cndmask_b32_e32 v7, v4, v7, vcc
.LBB0_4:                                ;   in Loop: Header=BB0_2 Depth=1
	s_andn2_saveexec_b64 s[0:1], s[22:23]
	s_cbranch_execz .LBB0_6
; %bb.5:                                ;   in Loop: Header=BB0_2 Depth=1
	v_cvt_f32_u32_e32 v4, s20
	s_sub_i32 s22, 0, s20
	v_rcp_iflag_f32_e32 v4, v4
	v_mul_f32_e32 v4, 0x4f7ffffe, v4
	v_cvt_u32_f32_e32 v4, v4
	v_mul_lo_u32 v7, s22, v4
	v_mul_hi_u32 v7, v4, v7
	v_add_u32_e32 v4, v4, v7
	v_mul_hi_u32 v4, v5, v4
	v_mul_lo_u32 v7, v4, s20
	v_add_u32_e32 v8, 1, v4
	v_sub_u32_e32 v7, v5, v7
	v_subrev_u32_e32 v9, s20, v7
	v_cmp_le_u32_e32 vcc, s20, v7
	v_cndmask_b32_e32 v7, v7, v9, vcc
	v_cndmask_b32_e32 v4, v4, v8, vcc
	v_add_u32_e32 v8, 1, v4
	v_cmp_le_u32_e32 vcc, s20, v7
	v_cndmask_b32_e32 v7, v4, v8, vcc
	v_mov_b32_e32 v8, v3
.LBB0_6:                                ;   in Loop: Header=BB0_2 Depth=1
	s_or_b64 exec, exec, s[0:1]
	v_mul_lo_u32 v4, v8, s20
	v_mul_lo_u32 v11, v7, s21
	v_mad_u64_u32 v[9:10], s[0:1], v7, s20, 0
	s_load_dwordx2 s[0:1], s[6:7], 0x0
	s_add_u32 s18, s18, 1
	v_add3_u32 v4, v10, v11, v4
	v_sub_co_u32_e32 v5, vcc, v5, v9
	v_subb_co_u32_e32 v4, vcc, v6, v4, vcc
	s_waitcnt lgkmcnt(0)
	v_mul_lo_u32 v4, s0, v4
	v_mul_lo_u32 v6, s1, v5
	v_mad_u64_u32 v[1:2], s[0:1], s0, v5, v[1:2]
	s_addc_u32 s19, s19, 0
	s_add_u32 s6, s6, 8
	v_add3_u32 v2, v6, v2, v4
	v_mov_b32_e32 v4, s10
	v_mov_b32_e32 v5, s11
	s_addc_u32 s7, s7, 0
	v_cmp_ge_u64_e32 vcc, s[18:19], v[4:5]
	s_add_u32 s16, s16, 8
	s_addc_u32 s17, s17, 0
	s_cbranch_vccnz .LBB0_9
; %bb.7:                                ;   in Loop: Header=BB0_2 Depth=1
	v_mov_b32_e32 v5, v7
	v_mov_b32_e32 v6, v8
	s_branch .LBB0_2
.LBB0_8:
	v_mov_b32_e32 v8, v6
	v_mov_b32_e32 v7, v5
.LBB0_9:
	s_lshl_b64 s[0:1], s[10:11], 3
	s_add_u32 s0, s2, s0
	s_addc_u32 s1, s3, s1
	s_load_dwordx2 s[2:3], s[0:1], 0x0
	s_load_dwordx2 s[6:7], s[4:5], 0x20
                                        ; implicit-def: $vgpr13
                                        ; implicit-def: $vgpr9
                                        ; implicit-def: $vgpr17
                                        ; implicit-def: $vgpr11
                                        ; implicit-def: $vgpr21
                                        ; implicit-def: $vgpr15
                                        ; implicit-def: $vgpr23
                                        ; implicit-def: $vgpr19
                                        ; implicit-def: $vgpr25
                                        ; implicit-def: $vgpr27
                                        ; implicit-def: $vgpr31
                                        ; implicit-def: $vgpr29
                                        ; implicit-def: $vgpr37
                                        ; implicit-def: $vgpr41
                                        ; implicit-def: $vgpr43
                                        ; implicit-def: $vgpr35
                                        ; implicit-def: $vgpr39
                                        ; implicit-def: $vgpr33
	s_waitcnt lgkmcnt(0)
	v_mad_u64_u32 v[1:2], s[0:1], s2, v7, v[1:2]
	v_mul_lo_u32 v3, s2, v8
	v_mul_lo_u32 v4, s3, v7
	s_mov_b32 s0, 0x2222223
	v_mul_hi_u32 v5, v0, s0
	v_cmp_gt_u64_e32 vcc, s[6:7], v[7:8]
	v_add3_u32 v2, v4, v2, v3
	v_lshlrev_b64 v[2:3], 3, v[1:2]
	v_mul_u32_u24_e32 v4, 0x78, v5
	v_sub_u32_e32 v0, v0, v4
                                        ; implicit-def: $vgpr5
                                        ; implicit-def: $vgpr7
	s_and_saveexec_b64 s[2:3], vcc
	s_cbranch_execz .LBB0_13
; %bb.10:
	v_mad_u64_u32 v[4:5], s[0:1], s12, v0, 0
	v_add_u32_e32 v9, 0xc0, v0
	v_mov_b32_e32 v8, s15
	v_mov_b32_e32 v1, v5
	v_mad_u64_u32 v[5:6], s[0:1], s13, v0, v[1:2]
	v_mad_u64_u32 v[6:7], s[0:1], s12, v9, 0
	v_add_co_u32_e64 v1, s[0:1], s14, v2
	v_addc_co_u32_e64 v41, s[0:1], v8, v3, s[0:1]
	v_mad_u64_u32 v[7:8], s[0:1], s13, v9, v[7:8]
	v_or_b32_e32 v10, 0x180, v0
	v_mad_u64_u32 v[8:9], s[0:1], s12, v10, 0
	v_lshlrev_b64 v[4:5], 3, v[4:5]
                                        ; implicit-def: $vgpr40
	v_add_co_u32_e64 v24, s[0:1], v1, v4
	v_addc_co_u32_e64 v25, s[0:1], v41, v5, s[0:1]
	v_lshlrev_b64 v[4:5], 3, v[6:7]
	v_mov_b32_e32 v6, v9
	v_mad_u64_u32 v[6:7], s[0:1], s13, v10, v[6:7]
	v_add_u32_e32 v7, 0x240, v0
	v_mad_u64_u32 v[10:11], s[0:1], s12, v7, 0
	v_add_co_u32_e64 v26, s[0:1], v1, v4
	v_mov_b32_e32 v9, v6
	v_mov_b32_e32 v6, v11
	v_addc_co_u32_e64 v27, s[0:1], v41, v5, s[0:1]
	v_lshlrev_b64 v[4:5], 3, v[8:9]
	v_mad_u64_u32 v[6:7], s[0:1], s13, v7, v[6:7]
	v_or_b32_e32 v9, 0x300, v0
	v_mad_u64_u32 v[7:8], s[0:1], s12, v9, 0
	v_add_co_u32_e64 v28, s[0:1], v1, v4
	v_mov_b32_e32 v11, v6
	v_mov_b32_e32 v6, v8
	v_addc_co_u32_e64 v29, s[0:1], v41, v5, s[0:1]
	v_lshlrev_b64 v[4:5], 3, v[10:11]
	v_mad_u64_u32 v[8:9], s[0:1], s13, v9, v[6:7]
	v_add_u32_e32 v11, 0x3c0, v0
	v_mad_u64_u32 v[9:10], s[0:1], s12, v11, 0
	v_add_co_u32_e64 v30, s[0:1], v1, v4
	v_mov_b32_e32 v6, v10
	v_addc_co_u32_e64 v31, s[0:1], v41, v5, s[0:1]
	v_lshlrev_b64 v[4:5], 3, v[7:8]
	v_mad_u64_u32 v[6:7], s[0:1], s13, v11, v[6:7]
	v_or_b32_e32 v11, 0x480, v0
	v_mad_u64_u32 v[7:8], s[0:1], s12, v11, 0
	v_add_co_u32_e64 v32, s[0:1], v1, v4
	v_mov_b32_e32 v10, v6
	v_mov_b32_e32 v6, v8
	v_addc_co_u32_e64 v33, s[0:1], v41, v5, s[0:1]
	v_lshlrev_b64 v[4:5], 3, v[9:10]
	v_mad_u64_u32 v[8:9], s[0:1], s13, v11, v[6:7]
	v_add_u32_e32 v11, 0x540, v0
	v_mad_u64_u32 v[9:10], s[0:1], s12, v11, 0
	v_add_co_u32_e64 v34, s[0:1], v1, v4
	;; [unrolled: 15-line block ×3, first 2 shown]
	v_mov_b32_e32 v6, v10
	v_addc_co_u32_e64 v39, s[0:1], v41, v5, s[0:1]
	v_lshlrev_b64 v[4:5], 3, v[7:8]
	v_mad_u64_u32 v[6:7], s[0:1], s13, v11, v[6:7]
	v_add_co_u32_e64 v42, s[0:1], v1, v4
	v_mov_b32_e32 v10, v6
	v_addc_co_u32_e64 v43, s[0:1], v41, v5, s[0:1]
	v_lshlrev_b64 v[4:5], 3, v[9:10]
	v_add_co_u32_e64 v45, s[0:1], v1, v4
	v_addc_co_u32_e64 v46, s[0:1], v41, v5, s[0:1]
	global_load_dwordx2 v[4:5], v[24:25], off
	global_load_dwordx2 v[6:7], v[26:27], off
	;; [unrolled: 1-line block ×10, first 2 shown]
	s_movk_i32 s0, 0x48
	v_cmp_gt_u32_e64 s[0:1], s0, v0
                                        ; implicit-def: $vgpr32
                                        ; implicit-def: $vgpr38
                                        ; implicit-def: $vgpr34
                                        ; implicit-def: $vgpr42
                                        ; implicit-def: $vgpr36
                                        ; implicit-def: $vgpr28
                                        ; implicit-def: $vgpr30
                                        ; implicit-def: $vgpr26
                                        ; implicit-def: $vgpr24
	s_and_saveexec_b64 s[4:5], s[0:1]
	s_cbranch_execz .LBB0_12
; %bb.11:
	v_add_u32_e32 v28, 0x78, v0
	v_add_u32_e32 v30, 0x138, v0
	v_mad_u64_u32 v[24:25], s[0:1], s12, v28, 0
	v_mad_u64_u32 v[26:27], s[0:1], s12, v30, 0
	v_add_u32_e32 v56, 0x738, v0
	v_mad_u64_u32 v[28:29], s[0:1], s13, v28, v[25:26]
	v_mov_b32_e32 v25, v28
	v_mad_u64_u32 v[27:28], s[0:1], s13, v30, v[27:28]
	v_add_u32_e32 v30, 0x1f8, v0
	v_mad_u64_u32 v[28:29], s[0:1], s12, v30, 0
	v_lshlrev_b64 v[24:25], 3, v[24:25]
	v_add_co_u32_e64 v32, s[0:1], v1, v24
	v_addc_co_u32_e64 v33, s[0:1], v41, v25, s[0:1]
	v_lshlrev_b64 v[24:25], 3, v[26:27]
	v_mov_b32_e32 v26, v29
	v_mad_u64_u32 v[26:27], s[0:1], s13, v30, v[26:27]
	v_add_u32_e32 v27, 0x2b8, v0
	v_mad_u64_u32 v[30:31], s[0:1], s12, v27, 0
	v_add_co_u32_e64 v34, s[0:1], v1, v24
	v_mov_b32_e32 v29, v26
	v_mov_b32_e32 v26, v31
	v_addc_co_u32_e64 v35, s[0:1], v41, v25, s[0:1]
	v_mad_u64_u32 v[26:27], s[0:1], s13, v27, v[26:27]
	v_lshlrev_b64 v[24:25], 3, v[28:29]
	v_add_co_u32_e64 v36, s[0:1], v1, v24
	v_mov_b32_e32 v31, v26
	v_add_u32_e32 v26, 0x378, v0
	v_addc_co_u32_e64 v37, s[0:1], v41, v25, s[0:1]
	v_mad_u64_u32 v[38:39], s[0:1], s12, v26, 0
	v_lshlrev_b64 v[24:25], 3, v[30:31]
	v_add_co_u32_e64 v42, s[0:1], v1, v24
	v_mov_b32_e32 v24, v39
	v_addc_co_u32_e64 v43, s[0:1], v41, v25, s[0:1]
	v_mad_u64_u32 v[39:40], s[0:1], s13, v26, v[24:25]
	v_add_u32_e32 v40, 0x438, v0
	v_mad_u64_u32 v[45:46], s[0:1], s12, v40, 0
	global_load_dwordx2 v[24:25], v[32:33], off
	global_load_dwordx2 v[26:27], v[34:35], off
	;; [unrolled: 1-line block ×4, first 2 shown]
	v_add_u32_e32 v37, 0x4f8, v0
	v_mov_b32_e32 v34, v46
	v_mad_u64_u32 v[34:35], s[0:1], s13, v40, v[34:35]
	v_mad_u64_u32 v[35:36], s[0:1], s12, v37, 0
	v_lshlrev_b64 v[32:33], 3, v[38:39]
	v_mov_b32_e32 v46, v34
	v_add_co_u32_e64 v42, s[0:1], v1, v32
	v_mov_b32_e32 v34, v36
	v_addc_co_u32_e64 v43, s[0:1], v41, v33, s[0:1]
	v_mad_u64_u32 v[36:37], s[0:1], s13, v37, v[34:35]
	v_add_u32_e32 v39, 0x5b8, v0
	v_mad_u64_u32 v[37:38], s[0:1], s12, v39, 0
	v_lshlrev_b64 v[32:33], 3, v[45:46]
	v_add_co_u32_e64 v45, s[0:1], v1, v32
	v_mov_b32_e32 v34, v38
	v_addc_co_u32_e64 v46, s[0:1], v41, v33, s[0:1]
	v_lshlrev_b64 v[32:33], 3, v[35:36]
	v_mad_u64_u32 v[34:35], s[0:1], s13, v39, v[34:35]
	v_add_co_u32_e64 v47, s[0:1], v1, v32
	v_mov_b32_e32 v38, v34
	v_add_u32_e32 v34, 0x678, v0
	v_addc_co_u32_e64 v48, s[0:1], v41, v33, s[0:1]
	v_mad_u64_u32 v[49:50], s[0:1], s12, v34, 0
	v_lshlrev_b64 v[32:33], 3, v[37:38]
	v_add_co_u32_e64 v51, s[0:1], v1, v32
	v_mov_b32_e32 v32, v50
	v_addc_co_u32_e64 v52, s[0:1], v41, v33, s[0:1]
	v_mad_u64_u32 v[53:54], s[0:1], s13, v34, v[32:33]
	v_mad_u64_u32 v[54:55], s[0:1], s12, v56, 0
	global_load_dwordx2 v[36:37], v[42:43], off
	global_load_dwordx2 v[32:33], v[45:46], off
	;; [unrolled: 1-line block ×4, first 2 shown]
	v_mov_b32_e32 v50, v53
	v_mov_b32_e32 v40, v55
	v_mad_u64_u32 v[45:46], s[0:1], s13, v56, v[40:41]
	v_lshlrev_b64 v[42:43], 3, v[49:50]
	v_add_co_u32_e64 v46, s[0:1], v1, v42
	v_mov_b32_e32 v55, v45
	v_addc_co_u32_e64 v47, s[0:1], v41, v43, s[0:1]
	v_lshlrev_b64 v[42:43], 3, v[54:55]
	v_add_co_u32_e64 v48, s[0:1], v1, v42
	v_addc_co_u32_e64 v49, s[0:1], v41, v43, s[0:1]
	global_load_dwordx2 v[42:43], v[46:47], off
	global_load_dwordx2 v[40:41], v[48:49], off
.LBB0_12:
	s_or_b64 exec, exec, s[4:5]
.LBB0_13:
	s_or_b64 exec, exec, s[2:3]
	s_waitcnt vmcnt(3)
	v_add_f32_e32 v1, v16, v20
	v_fma_f32 v49, -0.5, v1, v4
	v_sub_f32_e32 v1, v12, v16
	s_waitcnt vmcnt(1)
	v_sub_f32_e32 v46, v22, v20
	v_add_f32_e32 v52, v1, v46
	v_add_f32_e32 v1, v12, v22
	;; [unrolled: 1-line block ×3, first 2 shown]
	v_fmac_f32_e32 v4, -0.5, v1
	v_sub_f32_e32 v51, v17, v21
	v_mov_b32_e32 v53, v4
	v_sub_f32_e32 v50, v13, v23
	v_fmac_f32_e32 v53, 0xbf737871, v51
	v_sub_f32_e32 v1, v16, v12
	v_sub_f32_e32 v46, v20, v22
	v_fmac_f32_e32 v4, 0x3f737871, v51
	v_fmac_f32_e32 v53, 0x3f167918, v50
	v_add_f32_e32 v1, v1, v46
	v_fmac_f32_e32 v4, 0xbf167918, v50
	v_fmac_f32_e32 v53, 0x3e9e377a, v1
	;; [unrolled: 1-line block ×3, first 2 shown]
	v_add_f32_e32 v1, v10, v14
	v_fma_f32 v60, -0.5, v1, v6
	v_sub_f32_e32 v1, v8, v10
	s_waitcnt vmcnt(0)
	v_sub_f32_e32 v47, v18, v14
	v_add_f32_e32 v54, v1, v47
	v_add_f32_e32 v1, v8, v18
	;; [unrolled: 1-line block ×3, first 2 shown]
	v_fmac_f32_e32 v6, -0.5, v1
	v_sub_f32_e32 v55, v11, v15
	v_mov_b32_e32 v61, v6
	v_sub_f32_e32 v1, v10, v8
	v_sub_f32_e32 v47, v14, v18
	v_fmac_f32_e32 v61, 0xbf737871, v55
	v_sub_f32_e32 v56, v9, v19
	v_fmac_f32_e32 v6, 0x3f737871, v55
	v_add_f32_e32 v1, v1, v47
	v_fmac_f32_e32 v61, 0x3f167918, v56
	v_fmac_f32_e32 v6, 0xbf167918, v56
	v_fmac_f32_e32 v61, 0x3e9e377a, v1
	v_fmac_f32_e32 v6, 0x3e9e377a, v1
	v_sub_f32_e32 v1, v9, v11
	v_sub_f32_e32 v47, v19, v15
	v_add_f32_e32 v57, v1, v47
	v_sub_f32_e32 v1, v11, v9
	v_sub_f32_e32 v47, v15, v19
	v_add_f32_e32 v1, v1, v47
	v_add_f32_e32 v47, v9, v19
	v_fma_f32 v62, -0.5, v47, v7
	v_sub_f32_e32 v58, v10, v14
	v_mov_b32_e32 v63, v62
	v_fmac_f32_e32 v63, 0x3f737871, v58
	v_sub_f32_e32 v59, v8, v18
	v_fmac_f32_e32 v62, 0xbf737871, v58
	v_fmac_f32_e32 v63, 0xbf167918, v59
	;; [unrolled: 1-line block ×5, first 2 shown]
	v_and_b32_e32 v1, 1, v44
	v_mov_b32_e32 v8, 0x780
	v_cmp_eq_u32_e64 s[0:1], 1, v1
	v_cndmask_b32_e64 v1, 0, v8, s[0:1]
	v_add_f32_e32 v8, v45, v16
	v_add_f32_e32 v8, v8, v20
	;; [unrolled: 1-line block ×7, first 2 shown]
	v_fma_f32 v8, -0.5, v8, v7
	v_mov_b32_e32 v14, v8
	v_mov_b32_e32 v10, v60
	v_fmac_f32_e32 v14, 0xbf737871, v59
	v_mov_b32_e32 v65, v49
	v_fmac_f32_e32 v10, 0x3f737871, v56
	v_fmac_f32_e32 v14, 0xbf167918, v58
	s_mov_b32 s0, 0x3f737871
	v_fmac_f32_e32 v65, 0x3f737871, v50
	v_fmac_f32_e32 v10, 0x3f167918, v55
	;; [unrolled: 1-line block ×3, first 2 shown]
	v_mul_f32_e32 v18, 0x3e9e377a, v6
	v_fmac_f32_e32 v65, 0x3f167918, v51
	v_fmac_f32_e32 v10, 0x3e9e377a, v54
	v_mul_f32_e32 v67, 0x3f167918, v14
	v_mul_f32_e32 v68, 0x3e9e377a, v61
	v_fma_f32 v69, v62, s0, -v18
	v_mul_u32_u24_e32 v18, 10, v0
	v_fmac_f32_e32 v60, 0xbf737871, v56
	v_fmac_f32_e32 v65, 0x3e9e377a, v52
	;; [unrolled: 1-line block ×4, first 2 shown]
	v_lshl_add_u32 v46, v18, 2, 0
	v_fmac_f32_e32 v60, 0xbf167918, v55
	v_fmac_f32_e32 v8, 0x3f737871, v59
	v_add_f32_e32 v44, v64, v66
	v_add_f32_e32 v45, v65, v67
	;; [unrolled: 1-line block ×4, first 2 shown]
	v_lshl_add_u32 v18, v1, 2, v46
	v_fmac_f32_e32 v49, 0xbf737871, v50
	v_fmac_f32_e32 v60, 0x3e9e377a, v54
	;; [unrolled: 1-line block ×3, first 2 shown]
	ds_write2_b64 v18, v[44:45], v[47:48] offset1:1
	v_fmac_f32_e32 v49, 0xbf167918, v51
	v_fmac_f32_e32 v8, 0x3e9e377a, v57
	s_mov_b32 s1, 0x3f167918
	v_mul_f32_e32 v47, 0x3f4f1bbd, v60
	v_fmac_f32_e32 v49, 0x3e9e377a, v52
	v_fma_f32 v50, v8, s1, -v47
	v_sub_f32_e32 v44, v65, v67
	v_sub_f32_e32 v45, v53, v68
	;; [unrolled: 1-line block ×3, first 2 shown]
	v_add_f32_e32 v47, v49, v50
	ds_write2_b64 v18, v[47:48], v[44:45] offset0:2 offset1:3
	v_sub_f32_e32 v45, v49, v50
	v_sub_f32_e32 v44, v4, v69
	ds_write_b64 v18, v[44:45] offset:32
	v_sub_f32_e32 v4, v30, v36
	v_sub_f32_e32 v44, v42, v38
	v_add_f32_e32 v4, v4, v44
	v_add_f32_e32 v44, v36, v38
	v_fma_f32 v52, -0.5, v44, v24
	v_sub_f32_e32 v44, v31, v43
	v_mov_b32_e32 v47, v52
	v_fmac_f32_e32 v47, 0x3f737871, v44
	v_sub_f32_e32 v45, v37, v39
	v_fmac_f32_e32 v52, 0xbf737871, v44
	v_fmac_f32_e32 v47, 0x3f167918, v45
	;; [unrolled: 1-line block ×5, first 2 shown]
	v_add_f32_e32 v4, v30, v42
	v_add_f32_e32 v48, v24, v30
	v_fmac_f32_e32 v24, -0.5, v4
	v_mov_b32_e32 v50, v24
	v_sub_f32_e32 v4, v36, v30
	v_sub_f32_e32 v49, v38, v42
	v_fmac_f32_e32 v50, 0xbf737871, v45
	v_fmac_f32_e32 v24, 0x3f737871, v45
	v_add_f32_e32 v4, v4, v49
	v_fmac_f32_e32 v50, 0x3f167918, v44
	v_fmac_f32_e32 v24, 0xbf167918, v44
	;; [unrolled: 1-line block ×4, first 2 shown]
	v_sub_f32_e32 v4, v28, v32
	v_sub_f32_e32 v44, v40, v34
	v_add_f32_e32 v44, v44, v4
	v_add_f32_e32 v4, v34, v32
	v_fma_f32 v64, -0.5, v4, v26
	v_sub_f32_e32 v45, v29, v41
	v_mov_b32_e32 v4, v64
	v_fmac_f32_e32 v4, 0x3f737871, v45
	v_sub_f32_e32 v49, v33, v35
	v_fmac_f32_e32 v64, 0xbf737871, v45
	v_fmac_f32_e32 v4, 0x3f167918, v49
	v_fmac_f32_e32 v64, 0xbf167918, v49
	v_add_f32_e32 v51, v28, v40
	v_fmac_f32_e32 v4, 0x3e9e377a, v44
	v_fmac_f32_e32 v64, 0x3e9e377a, v44
	v_add_f32_e32 v44, v26, v28
	v_fmac_f32_e32 v26, -0.5, v51
	v_mov_b32_e32 v65, v26
	v_fmac_f32_e32 v65, 0xbf737871, v49
	v_fmac_f32_e32 v26, 0x3f737871, v49
	;; [unrolled: 1-line block ×4, first 2 shown]
	v_sub_f32_e32 v45, v29, v33
	v_sub_f32_e32 v49, v41, v35
	v_add_f32_e32 v45, v49, v45
	v_add_f32_e32 v49, v35, v33
	v_fma_f32 v66, -0.5, v49, v27
	v_sub_f32_e32 v51, v32, v28
	v_sub_f32_e32 v28, v28, v40
	v_mov_b32_e32 v67, v66
	v_sub_f32_e32 v53, v34, v40
	v_fmac_f32_e32 v67, 0xbf737871, v28
	v_sub_f32_e32 v49, v32, v34
	v_fmac_f32_e32 v66, 0x3f737871, v28
	v_add_f32_e32 v51, v53, v51
	v_fmac_f32_e32 v67, 0xbf167918, v49
	v_fmac_f32_e32 v66, 0x3f167918, v49
	;; [unrolled: 1-line block ×6, first 2 shown]
	v_sub_f32_e32 v45, v33, v29
	v_sub_f32_e32 v51, v35, v41
	v_add_f32_e32 v45, v51, v45
	v_add_f32_e32 v51, v29, v41
	v_fma_f32 v68, -0.5, v51, v27
	v_mov_b32_e32 v69, v68
	v_fmac_f32_e32 v69, 0x3f737871, v49
	v_fmac_f32_e32 v68, 0xbf737871, v49
	;; [unrolled: 1-line block ×3, first 2 shown]
	v_add_f32_e32 v32, v44, v32
	v_fmac_f32_e32 v68, 0x3f167918, v28
	v_fmac_f32_e32 v69, 0x3e9e377a, v45
	v_add_f32_e32 v28, v48, v36
	v_add_f32_e32 v32, v34, v32
	v_fmac_f32_e32 v68, 0x3e9e377a, v45
	v_add_f32_e32 v28, v28, v38
	v_add_f32_e32 v32, v40, v32
	v_mul_f32_e32 v34, 0x3f4f1bbd, v4
	v_mul_f32_e32 v51, 0x3f737871, v69
	;; [unrolled: 1-line block ×4, first 2 shown]
	v_add_f32_e32 v28, v42, v28
	v_fmac_f32_e32 v34, 0x3f167918, v67
	v_fmac_f32_e32 v51, 0x3e9e377a, v65
	v_fma_f32 v40, v68, s0, -v40
	v_fma_f32 v53, v66, s1, -v48
	s_movk_i32 s0, 0x48
	v_add_f32_e32 v44, v50, v51
	v_add_f32_e32 v45, v24, v40
	;; [unrolled: 1-line block ×3, first 2 shown]
	v_sub_f32_e32 v49, v28, v32
	v_sub_f32_e32 v51, v50, v51
	;; [unrolled: 1-line block ×3, first 2 shown]
	v_cmp_gt_u32_e64 s[2:3], s0, v0
	s_and_saveexec_b64 s[0:1], s[2:3]
	s_cbranch_execz .LBB0_15
; %bb.14:
	v_sub_f32_e32 v53, v52, v53
	v_sub_f32_e32 v52, v24, v40
	v_add_f32_e32 v55, v47, v34
	v_add_f32_e32 v54, v28, v32
	v_add_u32_e32 v24, 0x12c0, v18
	ds_write2_b64 v24, v[54:55], v[44:45] offset1:1
	v_add_u32_e32 v24, 0x12d0, v18
	ds_write2_b64 v24, v[48:49], v[50:51] offset1:1
	ds_write_b64 v18, v[52:53] offset:4832
.LBB0_15:
	s_or_b64 exec, exec, s[0:1]
	v_lshlrev_b32_e32 v1, 2, v1
	v_mul_i32_i24_e32 v28, 0xffffffdc, v0
	v_add3_u32 v28, v46, v28, v1
	v_add_u32_e32 v34, 0x180, v28
	s_waitcnt lgkmcnt(0)
	s_barrier
	ds_read2_b32 v[46:47], v34 offset0:24 offset1:224
	v_add_u32_e32 v34, 0x680, v28
	ds_read2_b32 v[58:59], v34 offset0:24 offset1:224
	v_add_u32_e32 v34, 0xb80, v28
	;; [unrolled: 2-line block ×3, first 2 shown]
	v_lshlrev_b32_e32 v32, 2, v0
	ds_read2_b32 v[54:55], v34 offset0:24 offset1:224
	v_add_u32_e32 v34, 0x1580, v28
	v_add3_u32 v24, 0, v1, v32
	ds_read2_b32 v[52:53], v34 offset0:24 offset1:224
	ds_read_b32 v34, v24
	ds_read_b32 v40, v28 offset:6880
	s_movk_i32 s0, 0x50
	v_cmp_gt_u32_e64 s[0:1], s0, v0
	s_and_saveexec_b64 s[4:5], s[0:1]
	s_cbranch_execz .LBB0_17
; %bb.16:
	v_add_u32_e32 v50, 0xc0, v28
	ds_read2st64_b32 v[44:45], v50 offset0:3 offset1:8
	ds_read2st64_b32 v[48:49], v50 offset0:13 offset1:18
	;; [unrolled: 1-line block ×3, first 2 shown]
.LBB0_17:
	s_or_b64 exec, exec, s[4:5]
	v_add_f32_e32 v70, v5, v13
	v_add_f32_e32 v70, v70, v17
	;; [unrolled: 1-line block ×5, first 2 shown]
	v_fma_f32 v75, -0.5, v70, v5
	v_sub_f32_e32 v12, v12, v22
	v_mov_b32_e32 v72, v75
	v_fmac_f32_e32 v72, 0xbf737871, v12
	v_sub_f32_e32 v16, v16, v20
	v_sub_f32_e32 v20, v13, v17
	;; [unrolled: 1-line block ×3, first 2 shown]
	v_fmac_f32_e32 v75, 0x3f737871, v12
	v_fmac_f32_e32 v72, 0xbf167918, v16
	v_add_f32_e32 v20, v20, v22
	v_fmac_f32_e32 v75, 0x3f167918, v16
	v_fmac_f32_e32 v72, 0x3e9e377a, v20
	;; [unrolled: 1-line block ×3, first 2 shown]
	v_add_f32_e32 v20, v13, v23
	v_fmac_f32_e32 v5, -0.5, v20
	v_mov_b32_e32 v20, v5
	v_sub_f32_e32 v13, v17, v13
	v_sub_f32_e32 v17, v21, v23
	v_fmac_f32_e32 v5, 0xbf737871, v16
	v_add_f32_e32 v7, v7, v9
	s_mov_b32 s4, 0xbf737871
	v_add_f32_e32 v13, v13, v17
	v_fmac_f32_e32 v5, 0x3f167918, v12
	v_add_f32_e32 v7, v7, v11
	v_mul_f32_e32 v11, 0x3e9e377a, v62
	v_fmac_f32_e32 v5, 0x3e9e377a, v13
	v_fma_f32 v6, v6, s4, -v11
	v_add_f32_e32 v62, v5, v6
	v_sub_f32_e32 v74, v5, v6
	v_add_f32_e32 v5, v25, v31
	v_add_f32_e32 v7, v7, v15
	;; [unrolled: 1-line block ×5, first 2 shown]
	v_fmac_f32_e32 v20, 0x3f737871, v16
	v_add_f32_e32 v21, v71, v7
	v_sub_f32_e32 v71, v71, v7
	v_add_f32_e32 v7, v43, v5
	v_add_f32_e32 v5, v37, v39
	s_mov_b32 s5, 0xbf167918
	v_fmac_f32_e32 v20, 0xbf167918, v12
	v_mul_f32_e32 v9, 0xbf167918, v10
	v_mul_f32_e32 v10, 0xbf737871, v61
	;; [unrolled: 1-line block ×3, first 2 shown]
	v_fma_f32 v6, -0.5, v5, v25
	v_fmac_f32_e32 v20, 0x3e9e377a, v13
	v_fmac_f32_e32 v9, 0x3f4f1bbd, v14
	;; [unrolled: 1-line block ×3, first 2 shown]
	v_fma_f32 v8, v60, s5, -v8
	v_sub_f32_e32 v5, v30, v42
	v_mov_b32_e32 v12, v6
	v_add_f32_e32 v22, v72, v9
	v_add_f32_e32 v61, v20, v10
	;; [unrolled: 1-line block ×3, first 2 shown]
	v_sub_f32_e32 v72, v72, v9
	v_sub_f32_e32 v73, v20, v10
	;; [unrolled: 1-line block ×3, first 2 shown]
	v_fmac_f32_e32 v12, 0xbf737871, v5
	v_sub_f32_e32 v8, v36, v38
	v_sub_f32_e32 v9, v31, v37
	;; [unrolled: 1-line block ×3, first 2 shown]
	v_fmac_f32_e32 v6, 0x3f737871, v5
	v_fmac_f32_e32 v12, 0xbf167918, v8
	v_add_f32_e32 v9, v9, v10
	v_fmac_f32_e32 v6, 0x3f167918, v8
	v_fmac_f32_e32 v12, 0x3e9e377a, v9
	;; [unrolled: 1-line block ×3, first 2 shown]
	v_add_f32_e32 v9, v31, v43
	v_fmac_f32_e32 v25, -0.5, v9
	v_mov_b32_e32 v9, v25
	v_fmac_f32_e32 v9, 0x3f737871, v8
	v_fmac_f32_e32 v25, 0xbf737871, v8
	;; [unrolled: 1-line block ×4, first 2 shown]
	v_add_f32_e32 v5, v27, v29
	v_add_f32_e32 v5, v5, v33
	v_sub_f32_e32 v10, v37, v31
	v_sub_f32_e32 v11, v39, v43
	v_add_f32_e32 v5, v35, v5
	v_add_f32_e32 v10, v10, v11
	;; [unrolled: 1-line block ×3, first 2 shown]
	v_mul_f32_e32 v14, 0xbf167918, v4
	v_mul_f32_e32 v17, 0xbf737871, v65
	;; [unrolled: 1-line block ×4, first 2 shown]
	v_fmac_f32_e32 v9, 0x3e9e377a, v10
	v_fmac_f32_e32 v25, 0x3e9e377a, v10
	;; [unrolled: 1-line block ×4, first 2 shown]
	v_fma_f32 v15, v26, s4, -v5
	v_fma_f32 v16, v64, s5, -v8
	v_add_f32_e32 v4, v9, v17
	v_add_f32_e32 v5, v25, v15
	;; [unrolled: 1-line block ×3, first 2 shown]
	v_sub_f32_e32 v11, v7, v13
	v_sub_f32_e32 v8, v12, v14
	;; [unrolled: 1-line block ×3, first 2 shown]
	v_add_u32_e32 v20, 0x78, v0
	s_waitcnt lgkmcnt(0)
	s_barrier
	ds_write2_b64 v18, v[21:22], v[61:62] offset1:1
	ds_write2_b64 v18, v[70:71], v[72:73] offset0:2 offset1:3
	ds_write_b64 v18, v[74:75] offset:32
	s_and_saveexec_b64 s[4:5], s[2:3]
	s_cbranch_execz .LBB0_19
; %bb.18:
	v_sub_f32_e32 v16, v6, v16
	v_mul_u32_u24_e32 v6, 10, v20
	v_lshlrev_b32_e32 v6, 2, v6
	v_add_f32_e32 v13, v7, v13
	v_add_f32_e32 v14, v12, v14
	v_add3_u32 v6, 0, v6, v1
	v_sub_f32_e32 v15, v25, v15
	ds_write2_b64 v6, v[13:14], v[4:5] offset1:1
	ds_write2_b64 v6, v[10:11], v[8:9] offset0:2 offset1:3
	ds_write_b64 v6, v[15:16] offset:32
.LBB0_19:
	s_or_b64 exec, exec, s[4:5]
	v_add_u32_e32 v12, 0x680, v28
	s_waitcnt lgkmcnt(0)
	s_barrier
	ds_read2_b32 v[18:19], v12 offset0:24 offset1:224
	v_add_u32_e32 v12, 0xb80, v28
	ds_read2_b32 v[16:17], v12 offset0:24 offset1:224
	v_add_u32_e32 v12, 0x1080, v28
	v_add_u32_e32 v6, 0x180, v28
	ds_read2_b32 v[14:15], v12 offset0:24 offset1:224
	v_add_u32_e32 v12, 0x1580, v28
	ds_read2_b32 v[6:7], v6 offset0:24 offset1:224
	ds_read2_b32 v[12:13], v12 offset0:24 offset1:224
	ds_read_b32 v22, v24
	ds_read_b32 v38, v28 offset:6880
	s_and_saveexec_b64 s[2:3], s[0:1]
	s_cbranch_execz .LBB0_21
; %bb.20:
	v_add_u32_e32 v8, 0xc0, v28
	ds_read2st64_b32 v[4:5], v8 offset0:3 offset1:8
	ds_read2st64_b32 v[10:11], v8 offset0:13 offset1:18
	;; [unrolled: 1-line block ×3, first 2 shown]
.LBB0_21:
	s_or_b64 exec, exec, s[2:3]
	s_movk_i32 s2, 0xcd
	v_mul_lo_u16_sdwa v21, v0, s2 dst_sel:DWORD dst_unused:UNUSED_PAD src0_sel:BYTE_0 src1_sel:DWORD
	v_mul_lo_u16_sdwa v25, v20, s2 dst_sel:DWORD dst_unused:UNUSED_PAD src0_sel:BYTE_0 src1_sel:DWORD
	v_lshrrev_b16_e32 v88, 11, v21
	v_lshrrev_b16_e32 v90, 11, v25
	v_mul_lo_u16_e32 v21, 10, v88
	v_mul_lo_u16_e32 v25, 10, v90
	v_sub_u16_e32 v89, v0, v21
	v_mov_b32_e32 v21, 5
	v_sub_u16_e32 v91, v20, v25
	v_mul_u32_u24_sdwa v23, v89, v21 dst_sel:DWORD dst_unused:UNUSED_PAD src0_sel:BYTE_0 src1_sel:DWORD
	v_mul_u32_u24_sdwa v21, v91, v21 dst_sel:DWORD dst_unused:UNUSED_PAD src0_sel:BYTE_0 src1_sel:DWORD
	v_lshlrev_b32_e32 v23, 3, v23
	v_lshlrev_b32_e32 v25, 3, v21
	v_add_u32_e32 v21, 0xf0, v0
	s_mov_b32 s2, 0xcccd
	global_load_dwordx4 v[60:63], v23, s[8:9]
	global_load_dwordx4 v[64:67], v23, s[8:9] offset:16
	global_load_dwordx4 v[68:71], v25, s[8:9]
	global_load_dwordx2 v[35:36], v23, s[8:9] offset:32
	global_load_dwordx4 v[72:75], v25, s[8:9] offset:16
	v_mul_u32_u24_sdwa v23, v21, s2 dst_sel:DWORD dst_unused:UNUSED_PAD src0_sel:WORD_0 src1_sel:DWORD
	v_lshrrev_b32_e32 v92, 19, v23
	v_mul_lo_u16_e32 v23, 10, v92
	v_sub_u16_e32 v93, v21, v23
	v_mul_u32_u24_e32 v23, 5, v93
	v_lshlrev_b32_e32 v23, 3, v23
	global_load_dwordx2 v[84:85], v25, s[8:9] offset:32
	global_load_dwordx4 v[76:79], v23, s[8:9]
	global_load_dwordx4 v[80:83], v23, s[8:9] offset:16
	global_load_dwordx2 v[86:87], v23, s[8:9] offset:32
	s_movk_i32 s2, 0xf0
	s_waitcnt vmcnt(0) lgkmcnt(0)
	s_barrier
	v_mul_f32_e32 v26, v19, v63
	v_mul_f32_e32 v31, v59, v63
	;; [unrolled: 1-line block ×5, first 2 shown]
	v_fma_f32 v30, v59, v62, -v26
	v_fmac_f32_e32 v31, v19, v62
	v_mul_f32_e32 v29, v17, v65
	v_mul_f32_e32 v33, v15, v67
	;; [unrolled: 1-line block ×7, first 2 shown]
	v_fma_f32 v53, v53, v35, -v37
	v_mul_f32_e32 v37, v50, v83
	v_fma_f32 v23, v47, v60, -v23
	v_fmac_f32_e32 v25, v7, v60
	v_mul_f32_e32 v7, v18, v69
	v_fmac_f32_e32 v19, v18, v68
	v_mul_f32_e32 v18, v16, v71
	;; [unrolled: 2-line block ×3, first 2 shown]
	v_fma_f32 v47, v57, v64, -v29
	v_mul_f32_e32 v29, v52, v75
	v_fma_f32 v43, v55, v66, -v33
	v_fmac_f32_e32 v42, v15, v66
	v_mul_f32_e32 v15, v5, v77
	v_fma_f32 v54, v54, v72, -v39
	v_mul_f32_e32 v39, v8, v83
	v_fmac_f32_e32 v37, v8, v82
	v_add_f32_e32 v8, v34, v30
	v_fma_f32 v18, v56, v70, -v18
	v_mul_f32_e32 v56, v12, v75
	v_fmac_f32_e32 v29, v12, v74
	v_fma_f32 v12, v45, v76, -v15
	v_add_f32_e32 v15, v8, v43
	v_add_f32_e32 v8, v30, v43
	v_fmac_f32_e32 v34, -0.5, v8
	v_mul_f32_e32 v33, v45, v77
	v_sub_f32_e32 v8, v31, v42
	v_mov_b32_e32 v45, v34
	v_mul_f32_e32 v27, v57, v65
	v_mul_f32_e32 v55, v10, v79
	v_fmac_f32_e32 v45, 0x3f5db3d7, v8
	v_fmac_f32_e32 v34, 0xbf5db3d7, v8
	v_add_f32_e32 v8, v23, v47
	v_fmac_f32_e32 v27, v17, v64
	v_mul_f32_e32 v17, v40, v85
	v_mul_f32_e32 v36, v48, v79
	v_fmac_f32_e32 v33, v5, v76
	v_fma_f32 v5, v48, v78, -v55
	v_add_f32_e32 v48, v8, v53
	v_add_f32_e32 v8, v47, v53
	v_mul_f32_e32 v57, v38, v85
	v_fmac_f32_e32 v41, v13, v35
	v_fmac_f32_e32 v17, v38, v84
	v_mul_f32_e32 v38, v51, v87
	v_fmac_f32_e32 v23, -0.5, v8
	v_fmac_f32_e32 v16, v14, v72
	v_mul_f32_e32 v14, v9, v87
	v_fmac_f32_e32 v38, v9, v86
	v_sub_f32_e32 v9, v27, v41
	v_mov_b32_e32 v8, v23
	v_fmac_f32_e32 v8, 0x3f5db3d7, v9
	v_fmac_f32_e32 v23, 0xbf5db3d7, v9
	v_add_f32_e32 v9, v27, v41
	v_mul_f32_e32 v35, v49, v81
	v_fma_f32 v9, -0.5, v9, v25
	v_fma_f32 v7, v58, v68, -v7
	v_mul_f32_e32 v58, v11, v81
	v_fmac_f32_e32 v35, v11, v80
	v_fma_f32 v11, v51, v86, -v14
	v_sub_f32_e32 v47, v47, v53
	v_mov_b32_e32 v14, v9
	v_fmac_f32_e32 v14, 0xbf5db3d7, v47
	v_fmac_f32_e32 v9, 0x3f5db3d7, v47
	v_mul_f32_e32 v47, 0x3f5db3d7, v14
	v_fma_f32 v13, v52, v74, -v56
	v_fmac_f32_e32 v36, v10, v78
	v_fma_f32 v10, v49, v80, -v58
	v_add_f32_e32 v49, v15, v48
	v_fmac_f32_e32 v47, 0.5, v8
	v_sub_f32_e32 v48, v15, v48
	v_add_f32_e32 v15, v46, v18
	v_add_f32_e32 v52, v45, v47
	v_sub_f32_e32 v55, v45, v47
	v_add_f32_e32 v45, v15, v13
	v_add_f32_e32 v15, v18, v13
	v_fmac_f32_e32 v46, -0.5, v15
	v_sub_f32_e32 v15, v26, v29
	v_mov_b32_e32 v47, v46
	v_fma_f32 v40, v40, v84, -v57
	v_fmac_f32_e32 v47, 0x3f5db3d7, v15
	v_fmac_f32_e32 v46, 0xbf5db3d7, v15
	v_add_f32_e32 v15, v7, v54
	v_fma_f32 v39, v50, v82, -v39
	v_mul_f32_e32 v50, -0.5, v23
	v_add_f32_e32 v51, v15, v40
	v_add_f32_e32 v15, v54, v40
	v_fmac_f32_e32 v50, 0x3f5db3d7, v9
	v_fmac_f32_e32 v7, -0.5, v15
	v_add_f32_e32 v53, v34, v50
	v_sub_f32_e32 v56, v34, v50
	v_sub_f32_e32 v34, v16, v17
	v_mov_b32_e32 v15, v7
	v_fmac_f32_e32 v15, 0x3f5db3d7, v34
	v_fmac_f32_e32 v7, 0xbf5db3d7, v34
	v_add_f32_e32 v34, v16, v17
	v_fma_f32 v34, -0.5, v34, v19
	v_sub_f32_e32 v40, v54, v40
	v_mov_b32_e32 v50, v34
	v_fmac_f32_e32 v50, 0xbf5db3d7, v40
	v_fmac_f32_e32 v34, 0x3f5db3d7, v40
	v_mul_f32_e32 v40, 0x3f5db3d7, v50
	v_fmac_f32_e32 v40, 0.5, v15
	v_add_f32_e32 v57, v47, v40
	v_mul_f32_e32 v58, -0.5, v7
	v_sub_f32_e32 v61, v47, v40
	v_add_f32_e32 v40, v10, v11
	v_fmac_f32_e32 v58, 0x3f5db3d7, v34
	v_fma_f32 v40, -0.5, v40, v12
	v_add_f32_e32 v54, v45, v51
	v_add_f32_e32 v59, v46, v58
	v_sub_f32_e32 v60, v45, v51
	v_sub_f32_e32 v58, v46, v58
	;; [unrolled: 1-line block ×3, first 2 shown]
	v_mov_b32_e32 v45, v40
	v_fmac_f32_e32 v45, 0x3f5db3d7, v46
	v_fmac_f32_e32 v40, 0xbf5db3d7, v46
	v_add_f32_e32 v46, v35, v38
	v_fma_f32 v46, -0.5, v46, v33
	v_sub_f32_e32 v51, v10, v11
	v_mov_b32_e32 v47, v46
	v_mov_b32_e32 v62, 2
	v_fmac_f32_e32 v47, 0xbf5db3d7, v51
	v_fmac_f32_e32 v46, 0x3f5db3d7, v51
	v_mad_u32_u24 v51, v88, s2, 0
	v_lshlrev_b32_sdwa v63, v62, v89 dst_sel:DWORD dst_unused:UNUSED_PAD src0_sel:DWORD src1_sel:BYTE_0
	v_add3_u32 v51, v51, v63, v1
	ds_write2_b32 v51, v49, v52 offset1:10
	ds_write2_b32 v51, v53, v48 offset0:20 offset1:30
	ds_write2_b32 v51, v55, v56 offset0:40 offset1:50
	v_mad_u32_u24 v48, v90, s2, 0
	v_lshlrev_b32_sdwa v49, v62, v91 dst_sel:DWORD dst_unused:UNUSED_PAD src0_sel:DWORD src1_sel:BYTE_0
	v_add3_u32 v52, v48, v49, v1
	v_mul_lo_u16_e32 v48, 60, v92
	v_lshl_add_u32 v49, v93, 2, 0
	ds_write2_b32 v52, v54, v57 offset1:10
	ds_write2_b32 v52, v59, v60 offset0:20 offset1:30
	ds_write2_b32 v52, v61, v58 offset0:40 offset1:50
	s_and_saveexec_b64 s[2:3], s[0:1]
	s_cbranch_execz .LBB0_23
; %bb.22:
	v_add_f32_e32 v53, v5, v39
	v_fma_f32 v53, -0.5, v53, v44
	v_sub_f32_e32 v54, v36, v37
	v_mov_b32_e32 v55, v53
	v_add_f32_e32 v44, v44, v5
	v_add_f32_e32 v10, v12, v10
	v_fmac_f32_e32 v55, 0xbf5db3d7, v54
	v_fmac_f32_e32 v53, 0x3f5db3d7, v54
	v_mul_f32_e32 v54, 0x3f5db3d7, v47
	v_add_f32_e32 v44, v44, v39
	v_add_f32_e32 v10, v10, v11
	v_mul_f32_e32 v56, -0.5, v40
	v_fmac_f32_e32 v54, 0.5, v45
	v_sub_f32_e32 v11, v44, v10
	v_add_f32_e32 v10, v44, v10
	v_lshlrev_b32_e32 v44, 2, v48
	v_fmac_f32_e32 v56, 0x3f5db3d7, v46
	v_sub_f32_e32 v58, v53, v54
	v_add_f32_e32 v53, v53, v54
	v_add3_u32 v44, v49, v44, v1
	v_sub_f32_e32 v57, v55, v56
	v_add_f32_e32 v12, v55, v56
	ds_write2_b32 v44, v10, v53 offset1:10
	ds_write2_b32 v44, v12, v11 offset0:20 offset1:30
	ds_write2_b32 v44, v58, v57 offset0:40 offset1:50
.LBB0_23:
	s_or_b64 exec, exec, s[2:3]
	v_add_f32_e32 v11, v31, v42
	v_add_f32_e32 v10, v22, v31
	v_fmac_f32_e32 v22, -0.5, v11
	v_sub_f32_e32 v11, v30, v43
	v_mul_f32_e32 v9, -0.5, v9
	v_mov_b32_e32 v12, v22
	v_fmac_f32_e32 v22, 0x3f5db3d7, v11
	v_mul_f32_e32 v8, 0xbf5db3d7, v8
	v_fmac_f32_e32 v9, 0xbf5db3d7, v23
	v_fmac_f32_e32 v12, 0xbf5db3d7, v11
	v_add_f32_e32 v11, v25, v27
	v_fmac_f32_e32 v8, 0.5, v14
	v_add_f32_e32 v44, v22, v9
	v_sub_f32_e32 v55, v22, v9
	v_add_f32_e32 v9, v26, v29
	v_add_f32_e32 v10, v10, v42
	;; [unrolled: 1-line block ×4, first 2 shown]
	v_sub_f32_e32 v54, v12, v8
	v_add_f32_e32 v8, v6, v26
	v_fmac_f32_e32 v6, -0.5, v9
	v_add_f32_e32 v42, v10, v11
	v_sub_f32_e32 v53, v10, v11
	v_sub_f32_e32 v9, v18, v13
	v_mov_b32_e32 v10, v6
	v_fmac_f32_e32 v10, 0xbf5db3d7, v9
	v_fmac_f32_e32 v6, 0x3f5db3d7, v9
	v_add_f32_e32 v9, v19, v16
	v_mul_f32_e32 v11, 0xbf5db3d7, v15
	v_mul_f32_e32 v12, -0.5, v34
	v_add3_u32 v22, 0, v32, v1
	v_add_f32_e32 v8, v8, v29
	v_add_f32_e32 v9, v9, v17
	v_fmac_f32_e32 v11, 0.5, v50
	v_fmac_f32_e32 v12, 0xbf5db3d7, v7
	v_add_u32_e32 v23, 0x200, v22
	v_add_u32_e32 v25, 0x600, v22
	;; [unrolled: 1-line block ×7, first 2 shown]
	v_add_f32_e32 v56, v8, v9
	v_add_f32_e32 v50, v10, v11
	v_add_f32_e32 v57, v6, v12
	v_sub_f32_e32 v58, v8, v9
	v_sub_f32_e32 v59, v10, v11
	;; [unrolled: 1-line block ×3, first 2 shown]
	s_waitcnt lgkmcnt(0)
	s_barrier
	ds_read_b32 v34, v24
	ds_read_b32 v41, v28 offset:480
	ds_read2_b32 v[18:19], v23 offset0:112 offset1:232
	ds_read2_b32 v[16:17], v25 offset0:96 offset1:216
	;; [unrolled: 1-line block ×7, first 2 shown]
	s_waitcnt lgkmcnt(0)
	s_barrier
	ds_write2_b32 v51, v42, v43 offset1:10
	ds_write2_b32 v51, v44, v53 offset0:20 offset1:30
	ds_write2_b32 v51, v54, v55 offset0:40 offset1:50
	ds_write2_b32 v52, v56, v50 offset1:10
	ds_write2_b32 v52, v57, v58 offset0:20 offset1:30
	ds_write2_b32 v52, v59, v60 offset0:40 offset1:50
	s_and_saveexec_b64 s[2:3], s[0:1]
	s_cbranch_execz .LBB0_25
; %bb.24:
	v_add_f32_e32 v32, v4, v36
	v_add_f32_e32 v36, v36, v37
	v_fmac_f32_e32 v4, -0.5, v36
	v_sub_f32_e32 v5, v5, v39
	v_mov_b32_e32 v36, v4
	v_fmac_f32_e32 v36, 0xbf5db3d7, v5
	v_fmac_f32_e32 v4, 0x3f5db3d7, v5
	v_add_f32_e32 v5, v33, v35
	v_mul_f32_e32 v35, 0xbf5db3d7, v45
	v_add_f32_e32 v32, v32, v37
	v_add_f32_e32 v5, v5, v38
	v_fmac_f32_e32 v35, 0.5, v47
	v_add_f32_e32 v33, v32, v5
	v_add_f32_e32 v37, v36, v35
	v_mul_f32_e32 v38, -0.5, v46
	v_sub_f32_e32 v5, v32, v5
	v_sub_f32_e32 v32, v36, v35
	v_lshlrev_b32_e32 v35, 2, v48
	v_fmac_f32_e32 v38, 0xbf5db3d7, v40
	v_add3_u32 v35, v49, v35, v1
	v_add_f32_e32 v39, v4, v38
	v_sub_f32_e32 v4, v4, v38
	ds_write2_b32 v35, v33, v37 offset1:10
	ds_write2_b32 v35, v39, v5 offset0:20 offset1:30
	ds_write2_b32 v35, v32, v4 offset0:40 offset1:50
.LBB0_25:
	s_or_b64 exec, exec, s[2:3]
	v_subrev_u32_e32 v4, 60, v0
	v_cmp_gt_u32_e64 s[0:1], 60, v0
	v_cndmask_b32_e64 v78, v4, v0, s[0:1]
	v_mul_i32_i24_e32 v4, 15, v78
	v_mov_b32_e32 v5, 0
	v_lshlrev_b64 v[32:33], 3, v[4:5]
	v_mov_b32_e32 v4, s9
	v_add_co_u32_e64 v32, s[0:1], s8, v32
	v_addc_co_u32_e64 v33, s[0:1], v4, v33, s[0:1]
	s_waitcnt lgkmcnt(0)
	s_barrier
	global_load_dwordx4 v[35:38], v[32:33], off offset:400
	global_load_dwordx4 v[42:45], v[32:33], off offset:416
	;; [unrolled: 1-line block ×7, first 2 shown]
	global_load_dwordx2 v[39:40], v[32:33], off offset:512
	ds_read_b32 v4, v24
	ds_read_b32 v79, v28 offset:480
	ds_read2_b32 v[32:33], v23 offset0:112 offset1:232
	ds_read2_b32 v[66:67], v25 offset0:96 offset1:216
	;; [unrolled: 1-line block ×7, first 2 shown]
	v_cmp_lt_u32_e64 s[0:1], 59, v0
	s_waitcnt vmcnt(0) lgkmcnt(0)
	s_barrier
	s_movk_i32 s2, 0x3c0
	v_mul_f32_e32 v80, v79, v36
	v_mul_f32_e32 v36, v41, v36
	;; [unrolled: 1-line block ×4, first 2 shown]
	v_fma_f32 v41, v41, v35, -v80
	v_fmac_f32_e32 v36, v79, v35
	v_mul_f32_e32 v35, v33, v43
	v_fmac_f32_e32 v38, v32, v37
	v_mul_f32_e32 v32, v19, v43
	v_fma_f32 v18, v18, v37, -v81
	v_mul_f32_e32 v37, v66, v45
	v_mul_f32_e32 v43, v16, v45
	;; [unrolled: 1-line block ×3, first 2 shown]
	v_fma_f32 v19, v19, v42, -v35
	v_mul_f32_e32 v35, v17, v47
	v_mul_f32_e32 v47, v68, v49
	v_fmac_f32_e32 v32, v33, v42
	v_mul_f32_e32 v33, v14, v49
	v_mul_f32_e32 v42, v69, v51
	v_fma_f32 v16, v16, v44, -v37
	v_fmac_f32_e32 v43, v66, v44
	v_mul_f32_e32 v37, v15, v51
	v_mul_f32_e32 v44, v70, v53
	;; [unrolled: 1-line block ×4, first 2 shown]
	v_fma_f32 v17, v17, v46, -v45
	v_mul_f32_e32 v45, v13, v55
	v_mul_f32_e32 v53, v72, v57
	v_fmac_f32_e32 v35, v67, v46
	v_mul_f32_e32 v46, v10, v57
	v_mul_f32_e32 v55, v73, v59
	v_fma_f32 v14, v14, v48, -v47
	v_fmac_f32_e32 v33, v68, v48
	v_mul_f32_e32 v47, v11, v59
	v_mul_f32_e32 v48, v74, v61
	v_mul_f32_e32 v57, v8, v61
	v_mul_f32_e32 v59, v75, v63
	v_fma_f32 v15, v15, v50, -v42
	v_mul_f32_e32 v42, v9, v63
	v_mul_f32_e32 v63, v77, v40
	v_mul_f32_e32 v61, v76, v65
	v_fmac_f32_e32 v37, v69, v50
	v_mul_f32_e32 v50, v6, v65
	v_fma_f32 v12, v12, v52, -v44
	v_fmac_f32_e32 v49, v70, v52
	v_fma_f32 v8, v8, v60, -v48
	v_fmac_f32_e32 v57, v74, v60
	v_fma_f32 v44, v7, v39, -v63
	v_mul_f32_e32 v7, v7, v40
	v_fma_f32 v10, v10, v56, -v53
	v_fmac_f32_e32 v46, v72, v56
	v_fma_f32 v6, v6, v64, -v61
	v_fmac_f32_e32 v50, v76, v64
	v_fmac_f32_e32 v7, v77, v39
	v_sub_f32_e32 v12, v34, v12
	v_sub_f32_e32 v39, v4, v49
	;; [unrolled: 1-line block ×4, first 2 shown]
	v_fma_f32 v16, v16, 2.0, -v8
	v_fma_f32 v43, v43, 2.0, -v40
	v_sub_f32_e32 v10, v18, v10
	v_sub_f32_e32 v46, v38, v46
	;; [unrolled: 1-line block ×5, first 2 shown]
	v_add_f32_e32 v8, v39, v8
	v_fma_f32 v34, v34, 2.0, -v12
	v_fma_f32 v4, v4, 2.0, -v39
	;; [unrolled: 1-line block ×6, first 2 shown]
	v_sub_f32_e32 v48, v10, v48
	v_add_f32_e32 v6, v46, v6
	v_fma_f32 v13, v13, v54, -v51
	v_fma_f32 v11, v11, v58, -v55
	;; [unrolled: 1-line block ×3, first 2 shown]
	v_fma_f32 v18, v18, 2.0, -v10
	v_fma_f32 v38, v38, 2.0, -v46
	;; [unrolled: 1-line block ×4, first 2 shown]
	v_mov_b32_e32 v49, v12
	v_mov_b32_e32 v50, v39
	v_sub_f32_e32 v13, v41, v13
	v_sub_f32_e32 v9, v17, v9
	;; [unrolled: 1-line block ×6, first 2 shown]
	v_fmac_f32_e32 v49, 0xbf3504f3, v10
	v_fmac_f32_e32 v50, 0xbf3504f3, v46
	;; [unrolled: 1-line block ×4, first 2 shown]
	v_fma_f32 v41, v41, 2.0, -v13
	v_fma_f32 v17, v17, 2.0, -v9
	;; [unrolled: 1-line block ×5, first 2 shown]
	v_fmac_f32_e32 v49, 0xbf3504f3, v46
	v_fmac_f32_e32 v50, 0x3f3504f3, v10
	v_add_f32_e32 v14, v43, v14
	v_fmac_f32_e32 v47, v73, v58
	v_sub_f32_e32 v45, v36, v45
	v_sub_f32_e32 v42, v35, v42
	v_fma_f32 v4, v4, 2.0, -v43
	v_sub_f32_e32 v17, v41, v17
	v_sub_f32_e32 v15, v19, v15
	v_fma_f32 v10, v12, 2.0, -v49
	v_fma_f32 v12, v39, 2.0, -v50
	;; [unrolled: 1-line block ×3, first 2 shown]
	v_mov_b32_e32 v43, v40
	v_fma_f32 v35, v35, 2.0, -v42
	v_sub_f32_e32 v47, v32, v47
	v_sub_f32_e32 v7, v37, v7
	v_fma_f32 v41, v41, 2.0, -v17
	v_sub_f32_e32 v42, v13, v42
	v_add_f32_e32 v9, v45, v9
	v_fma_f32 v19, v19, 2.0, -v15
	v_fmac_f32_e32 v43, 0x3f3504f3, v48
	v_mov_b32_e32 v46, v8
	v_fma_f32 v36, v36, 2.0, -v45
	v_fma_f32 v37, v37, 2.0, -v7
	;; [unrolled: 1-line block ×4, first 2 shown]
	v_sub_f32_e32 v7, v11, v7
	v_add_f32_e32 v44, v47, v44
	v_fmac_f32_e32 v46, 0x3f3504f3, v6
	v_fmac_f32_e32 v43, 0xbf3504f3, v6
	v_sub_f32_e32 v19, v41, v19
	v_fma_f32 v32, v32, 2.0, -v47
	v_fma_f32 v11, v11, 2.0, -v7
	;; [unrolled: 1-line block ×3, first 2 shown]
	v_fmac_f32_e32 v46, 0x3f3504f3, v48
	v_fma_f32 v6, v40, 2.0, -v43
	v_fma_f32 v40, v41, 2.0, -v19
	v_mov_b32_e32 v41, v13
	v_mov_b32_e32 v48, v45
	v_fmac_f32_e32 v41, 0xbf3504f3, v11
	v_fmac_f32_e32 v48, 0xbf3504f3, v47
	;; [unrolled: 1-line block ×4, first 2 shown]
	v_fma_f32 v11, v13, 2.0, -v41
	v_fma_f32 v13, v45, 2.0, -v48
	v_mov_b32_e32 v45, v42
	v_sub_f32_e32 v16, v34, v16
	v_sub_f32_e32 v33, v38, v33
	;; [unrolled: 1-line block ×3, first 2 shown]
	v_fmac_f32_e32 v45, 0x3f3504f3, v7
	v_mov_b32_e32 v47, v9
	v_fma_f32 v38, v38, 2.0, -v33
	v_sub_f32_e32 v37, v32, v37
	v_sub_f32_e32 v33, v16, v33
	v_add_f32_e32 v15, v35, v15
	v_fmac_f32_e32 v47, 0x3f3504f3, v44
	v_fmac_f32_e32 v45, 0xbf3504f3, v44
	v_mov_b32_e32 v44, v12
	v_fma_f32 v34, v34, 2.0, -v16
	v_fma_f32 v36, v36, 2.0, -v35
	;; [unrolled: 1-line block ×4, first 2 shown]
	v_sub_f32_e32 v37, v17, v37
	v_fma_f32 v35, v35, 2.0, -v15
	v_fmac_f32_e32 v47, 0x3f3504f3, v7
	v_fma_f32 v7, v42, 2.0, -v45
	v_mov_b32_e32 v42, v10
	v_fmac_f32_e32 v44, 0xbf6c835e, v13
	v_mov_b32_e32 v52, v39
	v_fma_f32 v17, v17, 2.0, -v37
	v_fmac_f32_e32 v42, 0xbf6c835e, v11
	v_fmac_f32_e32 v44, 0x3ec3ef15, v11
	v_mov_b32_e32 v11, v16
	v_fmac_f32_e32 v52, 0xbf3504f3, v35
	v_fma_f32 v8, v8, 2.0, -v46
	v_fmac_f32_e32 v42, 0xbec3ef15, v13
	v_fmac_f32_e32 v11, 0xbf3504f3, v17
	v_fmac_f32_e32 v52, 0x3f3504f3, v17
	v_mov_b32_e32 v13, v6
	v_fma_f32 v9, v9, 2.0, -v47
	v_fmac_f32_e32 v11, 0xbf3504f3, v35
	v_fma_f32 v35, v39, 2.0, -v52
	v_fmac_f32_e32 v13, 0xbec3ef15, v7
	v_mov_b32_e32 v39, v8
	v_fmac_f32_e32 v39, 0xbec3ef15, v9
	v_fmac_f32_e32 v13, 0xbf6c835e, v9
	v_mov_b32_e32 v9, v49
	v_fmac_f32_e32 v9, 0x3ec3ef15, v41
	v_mov_b32_e32 v55, v50
	v_sub_f32_e32 v38, v4, v38
	v_fmac_f32_e32 v55, 0x3ec3ef15, v48
	v_fmac_f32_e32 v9, 0xbf6c835e, v48
	v_mov_b32_e32 v17, v33
	v_mov_b32_e32 v48, v14
	v_add_f32_e32 v54, v38, v19
	v_fmac_f32_e32 v17, 0x3f3504f3, v37
	v_fmac_f32_e32 v48, 0x3f3504f3, v15
	v_mov_b32_e32 v19, 0x3c0
	v_fmac_f32_e32 v17, 0xbf3504f3, v15
	v_fmac_f32_e32 v48, 0x3f3504f3, v37
	v_cndmask_b32_e64 v19, 0, v19, s[0:1]
	v_sub_f32_e32 v18, v34, v18
	v_fma_f32 v15, v33, 2.0, -v17
	v_fma_f32 v33, v14, 2.0, -v48
	v_mov_b32_e32 v14, v43
	v_mov_b32_e32 v37, v46
	v_or_b32_e32 v19, v19, v78
	v_fma_f32 v34, v34, 2.0, -v18
	v_sub_f32_e32 v32, v36, v32
	v_fmac_f32_e32 v14, 0x3f6c835e, v45
	v_fmac_f32_e32 v37, 0x3f6c835e, v47
	v_lshlrev_b32_e32 v19, 2, v19
	v_sub_f32_e32 v40, v34, v40
	v_fmac_f32_e32 v39, 0x3f6c835e, v7
	v_sub_f32_e32 v7, v18, v32
	v_fmac_f32_e32 v14, 0xbec3ef15, v47
	v_fmac_f32_e32 v37, 0x3ec3ef15, v45
	v_add3_u32 v1, 0, v19, v1
	v_fma_f32 v34, v34, 2.0, -v40
	v_fma_f32 v10, v10, 2.0, -v42
	v_fma_f32 v53, v8, 2.0, -v39
	v_fma_f32 v8, v18, 2.0, -v7
	v_fma_f32 v18, v43, 2.0, -v14
	v_fma_f32 v43, v46, 2.0, -v37
	v_add_u32_e32 v46, 0x600, v1
	v_fma_f32 v51, v12, 2.0, -v44
	v_fma_f32 v12, v16, 2.0, -v11
	;; [unrolled: 1-line block ×4, first 2 shown]
	ds_write2_b32 v1, v34, v10 offset1:60
	ds_write2_b32 v1, v12, v6 offset0:120 offset1:180
	v_add_u32_e32 v34, 0x200, v1
	v_add_u32_e32 v45, 0x400, v1
	ds_write2_b32 v46, v40, v42 offset0:96 offset1:156
	v_add_u32_e32 v40, 0x800, v1
	v_add_u32_e32 v42, 0xa00, v1
	;; [unrolled: 1-line block ×3, first 2 shown]
	v_fma_f32 v36, v36, 2.0, -v32
	ds_write2_b32 v34, v8, v16 offset0:112 offset1:172
	ds_write2_b32 v45, v15, v18 offset0:104 offset1:164
	;; [unrolled: 1-line block ×5, first 2 shown]
	s_waitcnt lgkmcnt(0)
	s_barrier
	ds_read2_b32 v[6:7], v31 offset0:64 offset1:184
	ds_read_b32 v31, v24
	ds_read_b32 v32, v28 offset:480
	ds_read2_b32 v[8:9], v23 offset0:112 offset1:232
	ds_read2_b32 v[10:11], v27 offset0:48 offset1:168
	;; [unrolled: 1-line block ×6, first 2 shown]
	v_fma_f32 v4, v4, 2.0, -v38
	v_sub_f32_e32 v36, v4, v36
	v_fma_f32 v4, v4, 2.0, -v36
	v_fmac_f32_e32 v55, 0x3f6c835e, v41
	v_fma_f32 v38, v38, 2.0, -v54
	v_fma_f32 v41, v50, 2.0, -v55
	s_waitcnt lgkmcnt(0)
	s_barrier
	ds_write2_b32 v1, v4, v51 offset1:60
	ds_write2_b32 v1, v35, v53 offset0:120 offset1:180
	ds_write2_b32 v34, v38, v41 offset0:112 offset1:172
	;; [unrolled: 1-line block ×7, first 2 shown]
	s_waitcnt lgkmcnt(0)
	s_barrier
	s_and_saveexec_b64 s[0:1], vcc
	s_cbranch_execz .LBB0_27
; %bb.26:
	v_add_u32_e32 v4, 0x348, v0
	v_lshlrev_b64 v[26:27], 3, v[4:5]
	v_mov_b32_e32 v23, s9
	v_add_co_u32_e32 v1, vcc, s8, v26
	v_add_u32_e32 v29, 0x2d0, v0
	v_addc_co_u32_e32 v27, vcc, v23, v27, vcc
	v_mov_b32_e32 v30, v5
	v_add_co_u32_e32 v26, vcc, 0x1000, v1
	v_lshlrev_b64 v[33:34], 3, v[29:30]
	v_addc_co_u32_e32 v27, vcc, 0, v27, vcc
	v_add_co_u32_e32 v1, vcc, s8, v33
	s_movk_i32 s0, 0x1000
	v_addc_co_u32_e32 v30, vcc, v23, v34, vcc
	v_add_co_u32_e32 v33, vcc, s0, v1
	v_add_u32_e32 v25, 0x258, v0
	v_addc_co_u32_e32 v34, vcc, 0, v30, vcc
	global_load_dwordx2 v[35:36], v[26:27], off offset:3504
	global_load_dwordx2 v[37:38], v[33:34], off offset:3504
	v_mov_b32_e32 v26, v5
	v_lshlrev_b64 v[26:27], 3, v[25:26]
	s_movk_i32 s1, 0x2000
	v_add_co_u32_e32 v1, vcc, s8, v26
	v_addc_co_u32_e32 v27, vcc, v23, v27, vcc
	v_add_co_u32_e32 v26, vcc, s0, v1
	v_mov_b32_e32 v1, v5
	v_lshlrev_b64 v[33:34], 3, v[0:1]
	v_addc_co_u32_e32 v27, vcc, 0, v27, vcc
	v_add_co_u32_e32 v1, vcc, s8, v33
	v_addc_co_u32_e32 v5, vcc, v23, v34, vcc
	v_add_co_u32_e32 v33, vcc, s1, v1
	v_addc_co_u32_e32 v34, vcc, 0, v5, vcc
	global_load_dwordx2 v[26:27], v[26:27], off offset:3504
	v_add_co_u32_e32 v41, vcc, s0, v1
	global_load_dwordx2 v[39:40], v[33:34], off offset:3248
	v_addc_co_u32_e32 v42, vcc, 0, v5, vcc
	global_load_dwordx2 v[43:44], v[41:42], off offset:3504
	global_load_dwordx2 v[45:46], v[33:34], off offset:2288
	;; [unrolled: 1-line block ×4, first 2 shown]
	v_add_u32_e32 v5, 0x1a00, v22
	v_add_u32_e32 v1, 0xa00, v22
	v_add_u32_e32 v23, 0x600, v22
	v_add_u32_e32 v30, 0x1600, v22
	ds_read2_b32 v[33:34], v5 offset0:16 offset1:136
	ds_read2_b32 v[41:42], v1 offset0:80 offset1:200
	;; [unrolled: 1-line block ×4, first 2 shown]
	s_mov_b32 s3, 0x88888889
	s_waitcnt vmcnt(7)
	v_mul_f32_e32 v1, v19, v36
	s_waitcnt lgkmcnt(3)
	v_mul_f32_e32 v5, v34, v36
	v_fmac_f32_e32 v1, v34, v35
	v_fma_f32 v5, v19, v35, -v5
	s_waitcnt lgkmcnt(2)
	v_sub_f32_e32 v19, v42, v1
	s_waitcnt vmcnt(6)
	v_mul_f32_e32 v23, v18, v38
	v_mul_f32_e32 v30, v33, v38
	v_fmac_f32_e32 v23, v33, v37
	v_fma_f32 v30, v18, v37, -v30
	v_sub_f32_e32 v18, v17, v5
	v_add_u32_e32 v5, 0x200, v22
	v_fma_f32 v35, v17, 2.0, -v18
	s_waitcnt vmcnt(5)
	v_mul_f32_e32 v36, v15, v27
	s_waitcnt lgkmcnt(0)
	v_mul_f32_e32 v27, v54, v27
	v_fma_f32 v15, v15, v26, -v27
	s_waitcnt vmcnt(4)
	v_mul_f32_e32 v1, v14, v40
	v_fmac_f32_e32 v1, v53, v39
	v_sub_f32_e32 v33, v13, v15
	v_sub_f32_e32 v15, v51, v1
	v_mul_f32_e32 v1, v53, v40
	v_fma_f32 v1, v14, v39, -v1
	v_add_u32_e32 v14, 0x1200, v22
	v_sub_f32_e32 v27, v41, v23
	ds_read2_b32 v[22:23], v14 offset0:48 offset1:168
	ds_read2_b32 v[39:40], v5 offset0:112 offset1:232
	v_sub_f32_e32 v14, v12, v1
	s_waitcnt vmcnt(2)
	v_mul_f32_e32 v1, v11, v46
	v_fmac_f32_e32 v36, v54, v26
	s_waitcnt lgkmcnt(1)
	v_fmac_f32_e32 v1, v23, v45
	v_fma_f32 v17, v41, 2.0, -v27
	s_waitcnt lgkmcnt(0)
	v_sub_f32_e32 v41, v40, v1
	v_mul_f32_e32 v1, v23, v46
	v_sub_f32_e32 v34, v52, v36
	v_fma_f32 v1, v11, v45, -v1
	v_fma_f32 v38, v52, 2.0, -v34
	v_fma_f32 v52, v40, 2.0, -v41
	v_sub_f32_e32 v40, v9, v1
	s_waitcnt vmcnt(1)
	v_mul_f32_e32 v1, v10, v48
	v_fmac_f32_e32 v1, v22, v47
	v_sub_f32_e32 v11, v39, v1
	v_mul_f32_e32 v1, v22, v48
	v_add_u32_e32 v5, 0xe00, v28
	v_fma_f32 v1, v10, v47, -v1
	ds_read2_b32 v[22:23], v5 offset0:64 offset1:184
	v_sub_f32_e32 v10, v8, v1
	ds_read_b32 v1, v28 offset:480
	s_waitcnt vmcnt(0)
	v_mul_f32_e32 v5, v7, v50
	ds_read_b32 v28, v24
	s_waitcnt lgkmcnt(2)
	v_fmac_f32_e32 v5, v23, v49
	v_mad_u64_u32 v[47:48], s[0:1], s12, v0, 0
	s_waitcnt lgkmcnt(1)
	v_sub_f32_e32 v24, v1, v5
	v_fma_f32 v46, v1, 2.0, -v24
	v_mul_f32_e32 v1, v23, v50
	v_fma_f32 v1, v7, v49, -v1
	v_sub_f32_e32 v23, v32, v1
	v_mul_f32_e32 v1, v6, v44
	v_fmac_f32_e32 v1, v22, v43
	s_waitcnt lgkmcnt(0)
	v_sub_f32_e32 v7, v28, v1
	v_mul_f32_e32 v5, v22, v44
	v_mov_b32_e32 v1, v48
	v_mad_u64_u32 v[48:49], s[0:1], s13, v0, v[1:2]
	v_fma_f32 v1, v6, v43, -v5
	v_add_u32_e32 v5, 0x3c0, v0
	v_fma_f32 v36, v42, 2.0, -v19
	v_mad_u64_u32 v[42:43], s[0:1], s12, v5, 0
	v_sub_f32_e32 v6, v31, v1
	v_mov_b32_e32 v1, s15
	v_add_co_u32_e32 v22, vcc, s14, v2
	v_fma_f32 v45, v32, 2.0, -v23
	v_fma_f32 v32, v28, 2.0, -v7
	v_addc_co_u32_e32 v28, vcc, v1, v3, vcc
	v_mov_b32_e32 v3, v43
	v_lshlrev_b64 v[1:2], 3, v[47:48]
	v_mad_u64_u32 v[43:44], s[0:1], s13, v5, v[3:4]
	v_add_co_u32_e32 v1, vcc, v22, v1
	v_fma_f32 v31, v31, 2.0, -v6
	v_addc_co_u32_e32 v2, vcc, v28, v2, vcc
	v_mad_u64_u32 v[47:48], s[0:1], s12, v20, 0
	global_store_dwordx2 v[1:2], v[31:32], off
	v_lshlrev_b64 v[1:2], 3, v[42:43]
	v_mov_b32_e32 v3, v48
	v_add_co_u32_e32 v1, vcc, v22, v1
	v_addc_co_u32_e32 v2, vcc, v28, v2, vcc
	global_store_dwordx2 v[1:2], v[6:7], off
	v_add_u32_e32 v7, 0x438, v0
	v_sub_f32_e32 v26, v16, v30
	v_mad_u64_u32 v[30:31], s[0:1], s13, v20, v[3:4]
	v_mad_u64_u32 v[5:6], s[0:1], s12, v7, 0
	v_mov_b32_e32 v48, v30
	v_mad_u64_u32 v[30:31], s[0:1], s12, v21, 0
	v_mov_b32_e32 v3, v6
	v_lshlrev_b64 v[1:2], 3, v[47:48]
	v_mad_u64_u32 v[6:7], s[0:1], s13, v7, v[3:4]
	v_add_co_u32_e32 v1, vcc, v22, v1
	v_addc_co_u32_e32 v2, vcc, v28, v2, vcc
	v_mov_b32_e32 v3, v31
	global_store_dwordx2 v[1:2], v[45:46], off
	v_lshlrev_b64 v[1:2], 3, v[5:6]
	v_mad_u64_u32 v[5:6], s[0:1], s13, v21, v[3:4]
	v_add_u32_e32 v7, 0x4b0, v0
	v_add_co_u32_e32 v1, vcc, v22, v1
	v_mov_b32_e32 v31, v5
	v_mad_u64_u32 v[5:6], s[0:1], s12, v7, 0
	v_addc_co_u32_e32 v2, vcc, v28, v2, vcc
	v_mov_b32_e32 v3, v6
	v_mad_u64_u32 v[6:7], s[0:1], s13, v7, v[3:4]
	v_add_u32_e32 v7, 0x168, v0
	v_mad_u64_u32 v[20:21], s[0:1], s12, v7, 0
	global_store_dwordx2 v[1:2], v[23:24], off
	v_lshlrev_b64 v[1:2], 3, v[30:31]
	v_fma_f32 v37, v13, 2.0, -v33
	v_add_co_u32_e32 v1, vcc, v22, v1
	v_fma_f32 v13, v51, 2.0, -v15
	v_fma_f32 v51, v9, 2.0, -v40
	;; [unrolled: 1-line block ×4, first 2 shown]
	v_addc_co_u32_e32 v2, vcc, v28, v2, vcc
	v_mov_b32_e32 v3, v21
	global_store_dwordx2 v[1:2], v[8:9], off
	v_lshlrev_b64 v[1:2], 3, v[5:6]
	v_mad_u64_u32 v[5:6], s[0:1], s13, v7, v[3:4]
	v_add_u32_e32 v7, 0x528, v0
	v_add_co_u32_e32 v1, vcc, v22, v1
	v_mov_b32_e32 v21, v5
	v_mad_u64_u32 v[5:6], s[0:1], s12, v7, 0
	v_addc_co_u32_e32 v2, vcc, v28, v2, vcc
	v_mov_b32_e32 v3, v6
	v_mad_u64_u32 v[6:7], s[0:1], s13, v7, v[3:4]
	v_add_u32_e32 v3, 0x1e0, v0
	global_store_dwordx2 v[1:2], v[10:11], off
	v_lshlrev_b64 v[1:2], 3, v[20:21]
	v_mul_hi_u32 v7, v3, s3
	v_add_co_u32_e32 v1, vcc, v22, v1
	v_addc_co_u32_e32 v2, vcc, v28, v2, vcc
	global_store_dwordx2 v[1:2], v[51:52], off
	v_lshlrev_b64 v[1:2], 3, v[5:6]
	v_lshrrev_b32_e32 v5, 9, v7
	v_mad_u32_u24 v8, v5, s2, v3
	v_mad_u64_u32 v[5:6], s[0:1], s12, v8, 0
	v_add_u32_e32 v9, 0x3c0, v8
	v_add_co_u32_e32 v1, vcc, v22, v1
	v_mov_b32_e32 v3, v6
	v_mad_u64_u32 v[6:7], s[0:1], s13, v8, v[3:4]
	v_mad_u64_u32 v[7:8], s[0:1], s12, v9, 0
	v_addc_co_u32_e32 v2, vcc, v28, v2, vcc
	v_mov_b32_e32 v3, v8
	global_store_dwordx2 v[1:2], v[40:41], off
	v_lshlrev_b64 v[1:2], 3, v[5:6]
	v_mad_u64_u32 v[5:6], s[0:1], s13, v9, v[3:4]
	v_add_co_u32_e32 v1, vcc, v22, v1
	v_mov_b32_e32 v8, v5
	v_mad_u64_u32 v[5:6], s[0:1], s12, v25, 0
	v_fma_f32 v12, v12, 2.0, -v14
	v_addc_co_u32_e32 v2, vcc, v28, v2, vcc
	v_mov_b32_e32 v3, v6
	global_store_dwordx2 v[1:2], v[12:13], off
	v_lshlrev_b64 v[1:2], 3, v[7:8]
	v_mad_u64_u32 v[6:7], s[0:1], s13, v25, v[3:4]
	v_add_u32_e32 v3, 0x618, v0
	v_mad_u64_u32 v[7:8], s[0:1], s12, v3, 0
	v_add_co_u32_e32 v1, vcc, v22, v1
	v_addc_co_u32_e32 v2, vcc, v28, v2, vcc
	global_store_dwordx2 v[1:2], v[14:15], off
	v_mov_b32_e32 v2, v8
	v_mad_u64_u32 v[2:3], s[0:1], s13, v3, v[2:3]
	v_mul_hi_u32 v3, v29, s3
	v_lshlrev_b64 v[0:1], 3, v[5:6]
	v_mov_b32_e32 v8, v2
	v_add_co_u32_e32 v0, vcc, v22, v0
	v_addc_co_u32_e32 v1, vcc, v28, v1, vcc
	v_lshrrev_b32_e32 v2, 9, v3
	global_store_dwordx2 v[0:1], v[37:38], off
	v_lshlrev_b64 v[0:1], 3, v[7:8]
	v_mad_u32_u24 v7, v2, s2, v29
	v_mad_u64_u32 v[2:3], s[0:1], s12, v7, 0
	v_add_u32_e32 v8, 0x3c0, v7
	v_add_co_u32_e32 v0, vcc, v22, v0
	v_mad_u64_u32 v[5:6], s[0:1], s13, v7, v[3:4]
	v_mad_u64_u32 v[6:7], s[0:1], s12, v8, 0
	v_addc_co_u32_e32 v1, vcc, v28, v1, vcc
	v_mov_b32_e32 v3, v5
	global_store_dwordx2 v[0:1], v[33:34], off
	v_lshlrev_b64 v[0:1], 3, v[2:3]
	v_mov_b32_e32 v2, v7
	v_mad_u64_u32 v[2:3], s[0:1], s13, v8, v[2:3]
	v_mul_hi_u32 v3, v4, s3
	v_add_co_u32_e32 v0, vcc, v22, v0
	v_mov_b32_e32 v7, v2
	v_lshrrev_b32_e32 v2, 9, v3
	v_mad_u32_u24 v5, v2, s2, v4
	v_mad_u64_u32 v[2:3], s[0:1], s12, v5, 0
	v_fma_f32 v16, v16, 2.0, -v26
	v_addc_co_u32_e32 v1, vcc, v28, v1, vcc
	global_store_dwordx2 v[0:1], v[16:17], off
	v_lshlrev_b64 v[0:1], 3, v[6:7]
	v_mad_u64_u32 v[3:4], s[0:1], s13, v5, v[3:4]
	v_add_u32_e32 v6, 0x3c0, v5
	v_mad_u64_u32 v[4:5], s[0:1], s12, v6, 0
	v_add_co_u32_e32 v0, vcc, v22, v0
	v_addc_co_u32_e32 v1, vcc, v28, v1, vcc
	global_store_dwordx2 v[0:1], v[26:27], off
	v_lshlrev_b64 v[0:1], 3, v[2:3]
	v_mov_b32_e32 v2, v5
	v_mad_u64_u32 v[2:3], s[0:1], s13, v6, v[2:3]
	v_add_co_u32_e32 v0, vcc, v22, v0
	v_addc_co_u32_e32 v1, vcc, v28, v1, vcc
	v_mov_b32_e32 v5, v2
	global_store_dwordx2 v[0:1], v[35:36], off
	v_lshlrev_b64 v[0:1], 3, v[4:5]
	v_add_co_u32_e32 v0, vcc, v22, v0
	v_addc_co_u32_e32 v1, vcc, v28, v1, vcc
	global_store_dwordx2 v[0:1], v[18:19], off
.LBB0_27:
	s_endpgm
	.section	.rodata,"a",@progbits
	.p2align	6, 0x0
	.amdhsa_kernel fft_rtc_fwd_len1920_factors_10_6_16_2_wgs_240_tpt_120_halfLds_sp_ip_CI_sbrr_dirReg
		.amdhsa_group_segment_fixed_size 0
		.amdhsa_private_segment_fixed_size 0
		.amdhsa_kernarg_size 88
		.amdhsa_user_sgpr_count 6
		.amdhsa_user_sgpr_private_segment_buffer 1
		.amdhsa_user_sgpr_dispatch_ptr 0
		.amdhsa_user_sgpr_queue_ptr 0
		.amdhsa_user_sgpr_kernarg_segment_ptr 1
		.amdhsa_user_sgpr_dispatch_id 0
		.amdhsa_user_sgpr_flat_scratch_init 0
		.amdhsa_user_sgpr_private_segment_size 0
		.amdhsa_uses_dynamic_stack 0
		.amdhsa_system_sgpr_private_segment_wavefront_offset 0
		.amdhsa_system_sgpr_workgroup_id_x 1
		.amdhsa_system_sgpr_workgroup_id_y 0
		.amdhsa_system_sgpr_workgroup_id_z 0
		.amdhsa_system_sgpr_workgroup_info 0
		.amdhsa_system_vgpr_workitem_id 0
		.amdhsa_next_free_vgpr 94
		.amdhsa_next_free_sgpr 24
		.amdhsa_reserve_vcc 1
		.amdhsa_reserve_flat_scratch 0
		.amdhsa_float_round_mode_32 0
		.amdhsa_float_round_mode_16_64 0
		.amdhsa_float_denorm_mode_32 3
		.amdhsa_float_denorm_mode_16_64 3
		.amdhsa_dx10_clamp 1
		.amdhsa_ieee_mode 1
		.amdhsa_fp16_overflow 0
		.amdhsa_exception_fp_ieee_invalid_op 0
		.amdhsa_exception_fp_denorm_src 0
		.amdhsa_exception_fp_ieee_div_zero 0
		.amdhsa_exception_fp_ieee_overflow 0
		.amdhsa_exception_fp_ieee_underflow 0
		.amdhsa_exception_fp_ieee_inexact 0
		.amdhsa_exception_int_div_zero 0
	.end_amdhsa_kernel
	.text
.Lfunc_end0:
	.size	fft_rtc_fwd_len1920_factors_10_6_16_2_wgs_240_tpt_120_halfLds_sp_ip_CI_sbrr_dirReg, .Lfunc_end0-fft_rtc_fwd_len1920_factors_10_6_16_2_wgs_240_tpt_120_halfLds_sp_ip_CI_sbrr_dirReg
                                        ; -- End function
	.section	.AMDGPU.csdata,"",@progbits
; Kernel info:
; codeLenInByte = 10092
; NumSgprs: 28
; NumVgprs: 94
; ScratchSize: 0
; MemoryBound: 0
; FloatMode: 240
; IeeeMode: 1
; LDSByteSize: 0 bytes/workgroup (compile time only)
; SGPRBlocks: 3
; VGPRBlocks: 23
; NumSGPRsForWavesPerEU: 28
; NumVGPRsForWavesPerEU: 94
; Occupancy: 2
; WaveLimiterHint : 1
; COMPUTE_PGM_RSRC2:SCRATCH_EN: 0
; COMPUTE_PGM_RSRC2:USER_SGPR: 6
; COMPUTE_PGM_RSRC2:TRAP_HANDLER: 0
; COMPUTE_PGM_RSRC2:TGID_X_EN: 1
; COMPUTE_PGM_RSRC2:TGID_Y_EN: 0
; COMPUTE_PGM_RSRC2:TGID_Z_EN: 0
; COMPUTE_PGM_RSRC2:TIDIG_COMP_CNT: 0
	.type	__hip_cuid_fdd8561aaea8c18b,@object ; @__hip_cuid_fdd8561aaea8c18b
	.section	.bss,"aw",@nobits
	.globl	__hip_cuid_fdd8561aaea8c18b
__hip_cuid_fdd8561aaea8c18b:
	.byte	0                               ; 0x0
	.size	__hip_cuid_fdd8561aaea8c18b, 1

	.ident	"AMD clang version 19.0.0git (https://github.com/RadeonOpenCompute/llvm-project roc-6.4.0 25133 c7fe45cf4b819c5991fe208aaa96edf142730f1d)"
	.section	".note.GNU-stack","",@progbits
	.addrsig
	.addrsig_sym __hip_cuid_fdd8561aaea8c18b
	.amdgpu_metadata
---
amdhsa.kernels:
  - .args:
      - .actual_access:  read_only
        .address_space:  global
        .offset:         0
        .size:           8
        .value_kind:     global_buffer
      - .offset:         8
        .size:           8
        .value_kind:     by_value
      - .actual_access:  read_only
        .address_space:  global
        .offset:         16
        .size:           8
        .value_kind:     global_buffer
      - .actual_access:  read_only
        .address_space:  global
        .offset:         24
        .size:           8
        .value_kind:     global_buffer
      - .offset:         32
        .size:           8
        .value_kind:     by_value
      - .actual_access:  read_only
        .address_space:  global
        .offset:         40
        .size:           8
        .value_kind:     global_buffer
      - .actual_access:  read_only
        .address_space:  global
        .offset:         48
        .size:           8
        .value_kind:     global_buffer
      - .offset:         56
        .size:           4
        .value_kind:     by_value
      - .actual_access:  read_only
        .address_space:  global
        .offset:         64
        .size:           8
        .value_kind:     global_buffer
      - .actual_access:  read_only
        .address_space:  global
        .offset:         72
        .size:           8
        .value_kind:     global_buffer
      - .address_space:  global
        .offset:         80
        .size:           8
        .value_kind:     global_buffer
    .group_segment_fixed_size: 0
    .kernarg_segment_align: 8
    .kernarg_segment_size: 88
    .language:       OpenCL C
    .language_version:
      - 2
      - 0
    .max_flat_workgroup_size: 240
    .name:           fft_rtc_fwd_len1920_factors_10_6_16_2_wgs_240_tpt_120_halfLds_sp_ip_CI_sbrr_dirReg
    .private_segment_fixed_size: 0
    .sgpr_count:     28
    .sgpr_spill_count: 0
    .symbol:         fft_rtc_fwd_len1920_factors_10_6_16_2_wgs_240_tpt_120_halfLds_sp_ip_CI_sbrr_dirReg.kd
    .uniform_work_group_size: 1
    .uses_dynamic_stack: false
    .vgpr_count:     94
    .vgpr_spill_count: 0
    .wavefront_size: 64
amdhsa.target:   amdgcn-amd-amdhsa--gfx906
amdhsa.version:
  - 1
  - 2
...

	.end_amdgpu_metadata
